;; amdgpu-corpus repo=ROCm/rocFFT kind=compiled arch=gfx1030 opt=O3
	.text
	.amdgcn_target "amdgcn-amd-amdhsa--gfx1030"
	.amdhsa_code_object_version 6
	.protected	fft_rtc_back_len1600_factors_10_16_10_wgs_200_tpt_100_halfLds_dp_op_CI_CI_unitstride_sbrr_R2C_dirReg ; -- Begin function fft_rtc_back_len1600_factors_10_16_10_wgs_200_tpt_100_halfLds_dp_op_CI_CI_unitstride_sbrr_R2C_dirReg
	.globl	fft_rtc_back_len1600_factors_10_16_10_wgs_200_tpt_100_halfLds_dp_op_CI_CI_unitstride_sbrr_R2C_dirReg
	.p2align	8
	.type	fft_rtc_back_len1600_factors_10_16_10_wgs_200_tpt_100_halfLds_dp_op_CI_CI_unitstride_sbrr_R2C_dirReg,@function
fft_rtc_back_len1600_factors_10_16_10_wgs_200_tpt_100_halfLds_dp_op_CI_CI_unitstride_sbrr_R2C_dirReg: ; @fft_rtc_back_len1600_factors_10_16_10_wgs_200_tpt_100_halfLds_dp_op_CI_CI_unitstride_sbrr_R2C_dirReg
; %bb.0:
	s_clause 0x2
	s_load_dwordx4 s[12:15], s[4:5], 0x0
	s_load_dwordx4 s[8:11], s[4:5], 0x58
	;; [unrolled: 1-line block ×3, first 2 shown]
	v_mul_u32_u24_e32 v1, 0x290, v0
	v_mov_b32_e32 v3, 0
	v_lshrrev_b32_e32 v7, 16, v1
	v_mov_b32_e32 v1, 0
	v_mov_b32_e32 v6, v3
	v_mov_b32_e32 v2, 0
	v_lshl_add_u32 v5, s6, 1, v7
	s_waitcnt lgkmcnt(0)
	v_cmp_lt_u64_e64 s0, s[14:15], 2
	s_and_b32 vcc_lo, exec_lo, s0
	s_cbranch_vccnz .LBB0_8
; %bb.1:
	s_load_dwordx2 s[0:1], s[4:5], 0x10
	v_mov_b32_e32 v1, 0
	v_mov_b32_e32 v2, 0
	s_add_u32 s2, s18, 8
	s_addc_u32 s3, s19, 0
	s_add_u32 s6, s16, 8
	s_addc_u32 s7, s17, 0
	v_mov_b32_e32 v81, v2
	v_mov_b32_e32 v80, v1
	s_mov_b64 s[22:23], 1
	s_waitcnt lgkmcnt(0)
	s_add_u32 s20, s0, 8
	s_addc_u32 s21, s1, 0
.LBB0_2:                                ; =>This Inner Loop Header: Depth=1
	s_load_dwordx2 s[24:25], s[20:21], 0x0
                                        ; implicit-def: $vgpr84_vgpr85
	s_mov_b32 s0, exec_lo
	s_waitcnt lgkmcnt(0)
	v_or_b32_e32 v4, s25, v6
	v_cmpx_ne_u64_e32 0, v[3:4]
	s_xor_b32 s1, exec_lo, s0
	s_cbranch_execz .LBB0_4
; %bb.3:                                ;   in Loop: Header=BB0_2 Depth=1
	v_cvt_f32_u32_e32 v4, s24
	v_cvt_f32_u32_e32 v8, s25
	s_sub_u32 s0, 0, s24
	s_subb_u32 s26, 0, s25
	v_fmac_f32_e32 v4, 0x4f800000, v8
	v_rcp_f32_e32 v4, v4
	v_mul_f32_e32 v4, 0x5f7ffffc, v4
	v_mul_f32_e32 v8, 0x2f800000, v4
	v_trunc_f32_e32 v8, v8
	v_fmac_f32_e32 v4, 0xcf800000, v8
	v_cvt_u32_f32_e32 v8, v8
	v_cvt_u32_f32_e32 v4, v4
	v_mul_lo_u32 v9, s0, v8
	v_mul_hi_u32 v10, s0, v4
	v_mul_lo_u32 v11, s26, v4
	v_add_nc_u32_e32 v9, v10, v9
	v_mul_lo_u32 v10, s0, v4
	v_add_nc_u32_e32 v9, v9, v11
	v_mul_hi_u32 v11, v4, v10
	v_mul_lo_u32 v12, v4, v9
	v_mul_hi_u32 v13, v4, v9
	v_mul_hi_u32 v14, v8, v10
	v_mul_lo_u32 v10, v8, v10
	v_mul_hi_u32 v15, v8, v9
	v_mul_lo_u32 v9, v8, v9
	v_add_co_u32 v11, vcc_lo, v11, v12
	v_add_co_ci_u32_e32 v12, vcc_lo, 0, v13, vcc_lo
	v_add_co_u32 v10, vcc_lo, v11, v10
	v_add_co_ci_u32_e32 v10, vcc_lo, v12, v14, vcc_lo
	v_add_co_ci_u32_e32 v11, vcc_lo, 0, v15, vcc_lo
	v_add_co_u32 v9, vcc_lo, v10, v9
	v_add_co_ci_u32_e32 v10, vcc_lo, 0, v11, vcc_lo
	v_add_co_u32 v4, vcc_lo, v4, v9
	v_add_co_ci_u32_e32 v8, vcc_lo, v8, v10, vcc_lo
	v_mul_hi_u32 v9, s0, v4
	v_mul_lo_u32 v11, s26, v4
	v_mul_lo_u32 v10, s0, v8
	v_add_nc_u32_e32 v9, v9, v10
	v_mul_lo_u32 v10, s0, v4
	v_add_nc_u32_e32 v9, v9, v11
	v_mul_hi_u32 v11, v4, v10
	v_mul_lo_u32 v12, v4, v9
	v_mul_hi_u32 v13, v4, v9
	v_mul_hi_u32 v14, v8, v10
	v_mul_lo_u32 v10, v8, v10
	v_mul_hi_u32 v15, v8, v9
	v_mul_lo_u32 v9, v8, v9
	v_add_co_u32 v11, vcc_lo, v11, v12
	v_add_co_ci_u32_e32 v12, vcc_lo, 0, v13, vcc_lo
	v_add_co_u32 v10, vcc_lo, v11, v10
	v_add_co_ci_u32_e32 v10, vcc_lo, v12, v14, vcc_lo
	v_add_co_ci_u32_e32 v11, vcc_lo, 0, v15, vcc_lo
	v_add_co_u32 v9, vcc_lo, v10, v9
	v_add_co_ci_u32_e32 v10, vcc_lo, 0, v11, vcc_lo
	v_add_co_u32 v4, vcc_lo, v4, v9
	v_add_co_ci_u32_e32 v12, vcc_lo, v8, v10, vcc_lo
	v_mul_hi_u32 v14, v5, v4
	v_mad_u64_u32 v[10:11], null, v6, v4, 0
	v_mad_u64_u32 v[8:9], null, v5, v12, 0
	v_mad_u64_u32 v[12:13], null, v6, v12, 0
	v_add_co_u32 v4, vcc_lo, v14, v8
	v_add_co_ci_u32_e32 v8, vcc_lo, 0, v9, vcc_lo
	v_add_co_u32 v4, vcc_lo, v4, v10
	v_add_co_ci_u32_e32 v4, vcc_lo, v8, v11, vcc_lo
	v_add_co_ci_u32_e32 v8, vcc_lo, 0, v13, vcc_lo
	v_add_co_u32 v4, vcc_lo, v4, v12
	v_add_co_ci_u32_e32 v10, vcc_lo, 0, v8, vcc_lo
	v_mul_lo_u32 v11, s25, v4
	v_mad_u64_u32 v[8:9], null, s24, v4, 0
	v_mul_lo_u32 v12, s24, v10
	v_sub_co_u32 v8, vcc_lo, v5, v8
	v_add3_u32 v9, v9, v12, v11
	v_sub_nc_u32_e32 v11, v6, v9
	v_subrev_co_ci_u32_e64 v11, s0, s25, v11, vcc_lo
	v_add_co_u32 v12, s0, v4, 2
	v_add_co_ci_u32_e64 v13, s0, 0, v10, s0
	v_sub_co_u32 v14, s0, v8, s24
	v_sub_co_ci_u32_e32 v9, vcc_lo, v6, v9, vcc_lo
	v_subrev_co_ci_u32_e64 v11, s0, 0, v11, s0
	v_cmp_le_u32_e32 vcc_lo, s24, v14
	v_cmp_eq_u32_e64 s0, s25, v9
	v_cndmask_b32_e64 v14, 0, -1, vcc_lo
	v_cmp_le_u32_e32 vcc_lo, s25, v11
	v_cndmask_b32_e64 v15, 0, -1, vcc_lo
	v_cmp_le_u32_e32 vcc_lo, s24, v8
	;; [unrolled: 2-line block ×3, first 2 shown]
	v_cndmask_b32_e64 v16, 0, -1, vcc_lo
	v_cmp_eq_u32_e32 vcc_lo, s25, v11
	v_cndmask_b32_e64 v8, v16, v8, s0
	v_cndmask_b32_e32 v11, v15, v14, vcc_lo
	v_add_co_u32 v14, vcc_lo, v4, 1
	v_add_co_ci_u32_e32 v15, vcc_lo, 0, v10, vcc_lo
	v_cmp_ne_u32_e32 vcc_lo, 0, v11
	v_cndmask_b32_e32 v9, v15, v13, vcc_lo
	v_cndmask_b32_e32 v11, v14, v12, vcc_lo
	v_cmp_ne_u32_e32 vcc_lo, 0, v8
	v_cndmask_b32_e32 v85, v10, v9, vcc_lo
	v_cndmask_b32_e32 v84, v4, v11, vcc_lo
.LBB0_4:                                ;   in Loop: Header=BB0_2 Depth=1
	s_andn2_saveexec_b32 s0, s1
	s_cbranch_execz .LBB0_6
; %bb.5:                                ;   in Loop: Header=BB0_2 Depth=1
	v_cvt_f32_u32_e32 v4, s24
	s_sub_i32 s1, 0, s24
	v_mov_b32_e32 v85, v3
	v_rcp_iflag_f32_e32 v4, v4
	v_mul_f32_e32 v4, 0x4f7ffffe, v4
	v_cvt_u32_f32_e32 v4, v4
	v_mul_lo_u32 v8, s1, v4
	v_mul_hi_u32 v8, v4, v8
	v_add_nc_u32_e32 v4, v4, v8
	v_mul_hi_u32 v4, v5, v4
	v_mul_lo_u32 v8, v4, s24
	v_add_nc_u32_e32 v9, 1, v4
	v_sub_nc_u32_e32 v8, v5, v8
	v_subrev_nc_u32_e32 v10, s24, v8
	v_cmp_le_u32_e32 vcc_lo, s24, v8
	v_cndmask_b32_e32 v8, v8, v10, vcc_lo
	v_cndmask_b32_e32 v4, v4, v9, vcc_lo
	v_cmp_le_u32_e32 vcc_lo, s24, v8
	v_add_nc_u32_e32 v9, 1, v4
	v_cndmask_b32_e32 v84, v4, v9, vcc_lo
.LBB0_6:                                ;   in Loop: Header=BB0_2 Depth=1
	s_or_b32 exec_lo, exec_lo, s0
	v_mul_lo_u32 v4, v85, s24
	v_mul_lo_u32 v10, v84, s25
	s_load_dwordx2 s[0:1], s[6:7], 0x0
	v_mad_u64_u32 v[8:9], null, v84, s24, 0
	s_load_dwordx2 s[24:25], s[2:3], 0x0
	s_add_u32 s22, s22, 1
	s_addc_u32 s23, s23, 0
	s_add_u32 s2, s2, 8
	s_addc_u32 s3, s3, 0
	s_add_u32 s6, s6, 8
	v_add3_u32 v4, v9, v10, v4
	v_sub_co_u32 v5, vcc_lo, v5, v8
	s_addc_u32 s7, s7, 0
	s_add_u32 s20, s20, 8
	v_sub_co_ci_u32_e32 v4, vcc_lo, v6, v4, vcc_lo
	s_addc_u32 s21, s21, 0
	s_waitcnt lgkmcnt(0)
	v_mul_lo_u32 v6, s0, v4
	v_mul_lo_u32 v8, s1, v5
	v_mad_u64_u32 v[1:2], null, s0, v5, v[1:2]
	v_mul_lo_u32 v4, s24, v4
	v_mul_lo_u32 v9, s25, v5
	v_mad_u64_u32 v[80:81], null, s24, v5, v[80:81]
	v_cmp_ge_u64_e64 s0, s[22:23], s[14:15]
	v_add3_u32 v2, v8, v2, v6
	v_add3_u32 v81, v9, v81, v4
	s_and_b32 vcc_lo, exec_lo, s0
	s_cbranch_vccnz .LBB0_9
; %bb.7:                                ;   in Loop: Header=BB0_2 Depth=1
	v_mov_b32_e32 v5, v84
	v_mov_b32_e32 v6, v85
	s_branch .LBB0_2
.LBB0_8:
	v_mov_b32_e32 v81, v2
	v_mov_b32_e32 v85, v6
	;; [unrolled: 1-line block ×4, first 2 shown]
.LBB0_9:
	s_load_dwordx2 s[0:1], s[4:5], 0x28
	v_and_b32_e32 v4, 1, v7
	v_mul_hi_u32 v3, 0x28f5c29, v0
	s_lshl_b64 s[4:5], s[14:15], 3
                                        ; implicit-def: $vgpr82
                                        ; implicit-def: $vgpr86
	s_add_u32 s2, s18, s4
	s_addc_u32 s3, s19, s5
	s_waitcnt lgkmcnt(0)
	v_cmp_gt_u64_e32 vcc_lo, s[0:1], v[84:85]
	v_cmp_le_u64_e64 s1, s[0:1], v[84:85]
	v_cmp_eq_u32_e64 s0, 1, v4
	s_and_saveexec_b32 s6, s1
	s_xor_b32 s1, exec_lo, s6
; %bb.10:
	v_mul_u32_u24_e32 v1, 0x64, v3
                                        ; implicit-def: $vgpr3
	v_sub_nc_u32_e32 v82, v0, v1
                                        ; implicit-def: $vgpr0
                                        ; implicit-def: $vgpr1_vgpr2
	v_add_nc_u32_e32 v86, 0x64, v82
; %bb.11:
	s_or_saveexec_b32 s1, s1
	v_cndmask_b32_e64 v4, 0, 0x641, s0
	v_lshlrev_b32_e32 v98, 4, v4
	s_xor_b32 exec_lo, exec_lo, s1
	s_cbranch_execz .LBB0_13
; %bb.12:
	s_add_u32 s4, s16, s4
	s_addc_u32 s5, s17, s5
	v_lshlrev_b64 v[1:2], 4, v[1:2]
	s_load_dwordx2 s[4:5], s[4:5], 0x0
	s_waitcnt lgkmcnt(0)
	v_mul_lo_u32 v6, s5, v84
	v_mul_lo_u32 v7, s4, v85
	v_mad_u64_u32 v[4:5], null, s4, v84, 0
	v_add3_u32 v5, v5, v7, v6
	v_mul_u32_u24_e32 v6, 0x64, v3
	v_lshlrev_b64 v[3:4], 4, v[4:5]
	v_sub_nc_u32_e32 v82, v0, v6
	v_lshlrev_b32_e32 v64, 4, v82
	v_add_co_u32 v0, s0, s8, v3
	v_add_co_ci_u32_e64 v3, s0, s9, v4, s0
	v_add_nc_u32_e32 v86, 0x64, v82
	v_add_co_u32 v0, s0, v0, v1
	v_add_co_ci_u32_e64 v1, s0, v3, v2, s0
	v_add_co_u32 v8, s0, v0, v64
	v_add_co_ci_u32_e64 v9, s0, 0, v1, s0
	s_clause 0x1
	global_load_dwordx4 v[0:3], v[8:9], off
	global_load_dwordx4 v[4:7], v[8:9], off offset:1600
	v_add_co_u32 v10, s0, 0x800, v8
	v_add_co_ci_u32_e64 v11, s0, 0, v9, s0
	v_add_co_u32 v12, s0, 0x1000, v8
	v_add_co_ci_u32_e64 v13, s0, 0, v9, s0
	v_add_co_u32 v20, s0, 0x1800, v8
	v_add_co_ci_u32_e64 v21, s0, 0, v9, s0
	v_add_co_u32 v24, s0, 0x2000, v8
	v_add_co_ci_u32_e64 v25, s0, 0, v9, s0
	v_add_co_u32 v28, s0, 0x2800, v8
	v_add_co_ci_u32_e64 v29, s0, 0, v9, s0
	v_add_co_u32 v32, s0, 0x3000, v8
	v_add_co_ci_u32_e64 v33, s0, 0, v9, s0
	v_add_co_u32 v40, s0, 0x3800, v8
	v_add_co_ci_u32_e64 v41, s0, 0, v9, s0
	v_add_co_u32 v44, s0, 0x4000, v8
	v_add_co_ci_u32_e64 v45, s0, 0, v9, s0
	v_add_co_u32 v48, s0, 0x4800, v8
	v_add_co_ci_u32_e64 v49, s0, 0, v9, s0
	v_add_co_u32 v56, s0, 0x5000, v8
	v_add_co_ci_u32_e64 v57, s0, 0, v9, s0
	v_add_co_u32 v60, s0, 0x5800, v8
	v_add_co_ci_u32_e64 v61, s0, 0, v9, s0
	s_clause 0xd
	global_load_dwordx4 v[8:11], v[10:11], off offset:1152
	global_load_dwordx4 v[12:15], v[12:13], off offset:704
	global_load_dwordx4 v[16:19], v[20:21], off offset:256
	global_load_dwordx4 v[20:23], v[20:21], off offset:1856
	global_load_dwordx4 v[24:27], v[24:25], off offset:1408
	global_load_dwordx4 v[28:31], v[28:29], off offset:960
	global_load_dwordx4 v[32:35], v[32:33], off offset:512
	global_load_dwordx4 v[36:39], v[40:41], off offset:64
	global_load_dwordx4 v[40:43], v[40:41], off offset:1664
	global_load_dwordx4 v[44:47], v[44:45], off offset:1216
	global_load_dwordx4 v[48:51], v[48:49], off offset:768
	global_load_dwordx4 v[52:55], v[56:57], off offset:320
	global_load_dwordx4 v[56:59], v[56:57], off offset:1920
	global_load_dwordx4 v[60:63], v[60:61], off offset:1472
	v_add3_u32 v64, 0, v98, v64
	s_waitcnt vmcnt(15)
	ds_write_b128 v64, v[0:3]
	s_waitcnt vmcnt(14)
	ds_write_b128 v64, v[4:7] offset:1600
	s_waitcnt vmcnt(13)
	ds_write_b128 v64, v[8:11] offset:3200
	s_waitcnt vmcnt(12)
	ds_write_b128 v64, v[12:15] offset:4800
	s_waitcnt vmcnt(11)
	ds_write_b128 v64, v[16:19] offset:6400
	s_waitcnt vmcnt(10)
	ds_write_b128 v64, v[20:23] offset:8000
	s_waitcnt vmcnt(9)
	ds_write_b128 v64, v[24:27] offset:9600
	s_waitcnt vmcnt(8)
	ds_write_b128 v64, v[28:31] offset:11200
	s_waitcnt vmcnt(7)
	ds_write_b128 v64, v[32:35] offset:12800
	s_waitcnt vmcnt(6)
	ds_write_b128 v64, v[36:39] offset:14400
	s_waitcnt vmcnt(5)
	ds_write_b128 v64, v[40:43] offset:16000
	s_waitcnt vmcnt(4)
	ds_write_b128 v64, v[44:47] offset:17600
	s_waitcnt vmcnt(3)
	ds_write_b128 v64, v[48:51] offset:19200
	s_waitcnt vmcnt(2)
	ds_write_b128 v64, v[52:55] offset:20800
	s_waitcnt vmcnt(1)
	ds_write_b128 v64, v[56:59] offset:22400
	s_waitcnt vmcnt(0)
	ds_write_b128 v64, v[60:63] offset:24000
.LBB0_13:
	s_or_b32 exec_lo, exec_lo, s1
	v_lshlrev_b32_e32 v83, 4, v82
	s_load_dwordx2 s[2:3], s[2:3], 0x0
	s_waitcnt lgkmcnt(0)
	s_barrier
	buffer_gl0_inv
	v_add3_u32 v97, 0, v83, v98
	v_add_nc_u32_e32 v95, 0, v98
	s_mov_b32 s16, 0x134454ff
	s_mov_b32 s17, 0xbfee6f0e
	;; [unrolled: 1-line block ×3, first 2 shown]
	ds_read_b128 v[0:3], v97 offset:17920
	ds_read_b128 v[4:7], v97 offset:12800
	v_add_nc_u32_e32 v96, v95, v83
	ds_read_b128 v[8:11], v97 offset:5120
	ds_read_b128 v[12:15], v96
	ds_read_b128 v[56:59], v97 offset:10240
	ds_read_b128 v[60:63], v97 offset:15360
	;; [unrolled: 1-line block ×7, first 2 shown]
	s_mov_b32 s4, s16
	ds_read_b128 v[40:43], v97 offset:1600
	ds_read_b128 v[44:47], v97 offset:6720
	;; [unrolled: 1-line block ×9, first 2 shown]
	s_mov_b32 s14, 0x4755a5e
	s_mov_b32 s15, 0xbfe2cf23
	;; [unrolled: 1-line block ×10, first 2 shown]
	s_waitcnt lgkmcnt(16)
	v_add_f64 v[91:92], v[12:13], v[8:9]
	v_add_f64 v[87:88], v[6:7], v[2:3]
	;; [unrolled: 1-line block ×4, first 2 shown]
	v_add_f64 v[133:134], v[6:7], -v[2:3]
	s_waitcnt lgkmcnt(13)
	v_add_f64 v[135:136], v[64:65], -v[4:5]
	s_waitcnt lgkmcnt(10)
	v_add_f64 v[107:108], v[66:67], -v[70:71]
	v_add_f64 v[109:110], v[66:67], v[70:71]
	v_add_f64 v[111:112], v[64:65], -v[68:69]
	s_waitcnt lgkmcnt(9)
	v_add_f64 v[129:130], v[72:73], v[64:65]
	v_add_f64 v[131:132], v[74:75], v[66:67]
	v_add_f64 v[137:138], v[4:5], -v[0:1]
	v_add_f64 v[139:140], v[66:67], -v[6:7]
	v_add_f64 v[141:142], v[64:65], v[68:69]
	v_add_f64 v[143:144], v[68:69], -v[0:1]
	v_add_f64 v[99:100], v[56:57], v[60:61]
	v_add_f64 v[101:102], v[58:59], -v[62:63]
	v_add_f64 v[103:104], v[8:9], -v[56:57]
	;; [unrolled: 1-line block ×3, first 2 shown]
	v_add_f64 v[113:114], v[58:59], v[62:63]
	v_add_f64 v[115:116], v[56:57], -v[60:61]
	v_add_f64 v[117:118], v[10:11], -v[58:59]
	v_add_f64 v[119:120], v[58:59], -v[10:11]
	v_fma_f64 v[87:88], v[87:88], -0.5, v[74:75]
	v_fma_f64 v[89:90], v[89:90], -0.5, v[72:73]
	s_waitcnt lgkmcnt(4)
	v_add_f64 v[121:122], v[10:11], -v[78:79]
	v_add_f64 v[123:124], v[8:9], v[76:77]
	v_add_f64 v[10:11], v[10:11], v[78:79]
	v_add_f64 v[125:126], v[76:77], -v[60:61]
	v_fma_f64 v[74:75], v[109:110], -0.5, v[74:75]
	v_add_f64 v[109:110], v[70:71], -v[2:3]
	v_add_f64 v[64:65], v[4:5], -v[64:65]
	;; [unrolled: 1-line block ×3, first 2 shown]
	v_add_f64 v[56:57], v[91:92], v[56:57]
	v_add_f64 v[58:59], v[93:94], v[58:59]
	v_add_f64 v[93:94], v[2:3], -v[70:71]
	v_add_f64 v[4:5], v[129:130], v[4:5]
	v_add_f64 v[6:7], v[131:132], v[6:7]
	v_fma_f64 v[72:73], v[141:142], -0.5, v[72:73]
	v_add_f64 v[135:136], v[135:136], v[143:144]
	v_add_f64 v[149:150], v[78:79], -v[62:63]
	v_add_f64 v[91:92], v[0:1], -v[68:69]
	v_fma_f64 v[99:100], v[99:100], -0.5, v[12:13]
	v_add_f64 v[8:9], v[8:9], -v[76:77]
	v_add_f64 v[127:128], v[60:61], -v[76:77]
	v_fma_f64 v[145:146], v[111:112], s[4:5], v[87:88]
	v_fma_f64 v[147:148], v[107:108], s[16:17], v[89:90]
	v_add_f64 v[151:152], v[62:63], -v[78:79]
	v_fma_f64 v[12:13], v[123:124], -0.5, v[12:13]
	v_fma_f64 v[10:11], v[10:11], -0.5, v[14:15]
	v_add_f64 v[125:126], v[103:104], v[125:126]
	v_fma_f64 v[141:142], v[137:138], s[16:17], v[74:75]
	v_add_f64 v[109:110], v[139:140], v[109:110]
	v_fma_f64 v[113:114], v[113:114], -0.5, v[14:15]
	s_waitcnt lgkmcnt(0)
	v_add_f64 v[123:124], v[52:53], v[32:33]
	v_add_f64 v[56:57], v[56:57], v[60:61]
	;; [unrolled: 1-line block ×6, first 2 shown]
	v_fma_f64 v[93:94], v[133:134], s[4:5], v[72:73]
	v_add_f64 v[62:63], v[20:21], v[16:17]
	v_add_f64 v[117:118], v[117:118], v[149:150]
	;; [unrolled: 1-line block ×4, first 2 shown]
	v_fma_f64 v[74:75], v[137:138], s[4:5], v[74:75]
	v_fma_f64 v[72:73], v[133:134], s[16:17], v[72:73]
	;; [unrolled: 1-line block ×4, first 2 shown]
	v_add_f64 v[14:15], v[54:55], -v[34:35]
	v_fma_f64 v[91:92], v[101:102], s[4:5], v[12:13]
	v_fma_f64 v[12:13], v[101:102], s[16:17], v[12:13]
	;; [unrolled: 1-line block ×4, first 2 shown]
	v_add_f64 v[127:128], v[105:106], v[127:128]
	v_fma_f64 v[6:7], v[8:9], s[4:5], v[113:114]
	v_add_f64 v[159:160], v[52:53], -v[32:33]
	v_add_f64 v[56:57], v[56:57], v[76:77]
	v_add_f64 v[58:59], v[58:59], v[78:79]
	v_fma_f64 v[76:77], v[115:116], s[16:17], v[10:11]
	v_fma_f64 v[10:11], v[115:116], s[4:5], v[10:11]
	;; [unrolled: 1-line block ×3, first 2 shown]
	v_add_f64 v[0:1], v[0:1], v[68:69]
	v_fma_f64 v[68:69], v[107:108], s[14:15], v[93:94]
	v_add_f64 v[2:3], v[2:3], v[70:71]
	v_add_f64 v[119:120], v[119:120], v[151:152]
	v_add_f64 v[151:152], v[20:21], -v[16:17]
	v_fma_f64 v[99:100], v[121:122], s[4:5], v[99:100]
	v_fma_f64 v[105:106], v[8:9], s[16:17], v[113:114]
	;; [unrolled: 1-line block ×9, first 2 shown]
	v_add_f64 v[103:104], v[54:55], v[34:35]
	v_fma_f64 v[62:63], v[62:63], -0.5, v[48:49]
	v_add_f64 v[153:154], v[36:37], v[28:29]
	v_add_f64 v[145:146], v[44:45], v[24:25]
	;; [unrolled: 1-line block ×3, first 2 shown]
	v_fma_f64 v[76:77], v[8:9], s[0:1], v[76:77]
	v_fma_f64 v[8:9], v[8:9], s[14:15], v[10:11]
	v_fma_f64 v[10:11], v[111:112], s[14:15], v[74:75]
	v_fma_f64 v[74:75], v[137:138], s[14:15], v[78:79]
	v_fma_f64 v[68:69], v[64:65], s[6:7], v[68:69]
	v_add_f64 v[60:61], v[46:47], v[26:27]
	v_add_f64 v[141:142], v[22:23], -v[18:19]
	v_fma_f64 v[4:5], v[101:102], s[14:15], v[4:5]
	v_fma_f64 v[6:7], v[115:116], s[0:1], v[6:7]
	;; [unrolled: 1-line block ×3, first 2 shown]
	v_mul_f64 v[70:71], v[139:140], s[14:15]
	v_mul_f64 v[93:94], v[143:144], s[0:1]
	v_fma_f64 v[115:116], v[115:116], s[14:15], v[105:106]
	v_fma_f64 v[89:90], v[133:134], s[0:1], v[89:90]
	v_add_f64 v[99:100], v[56:57], v[0:1]
	v_add_f64 v[101:102], v[58:59], v[2:3]
	v_mul_f64 v[78:79], v[87:88], s[16:17]
	v_mul_f64 v[87:88], v[87:88], s[6:7]
	v_add_f64 v[105:106], v[58:59], -v[2:3]
	v_fma_f64 v[12:13], v[127:128], s[6:7], v[12:13]
	v_add_f64 v[155:156], v[46:47], -v[26:27]
	v_add_f64 v[129:130], v[44:45], -v[36:37]
	v_fma_f64 v[2:3], v[119:120], s[6:7], v[76:77]
	v_fma_f64 v[8:9], v[119:120], s[6:7], v[8:9]
	;; [unrolled: 1-line block ×4, first 2 shown]
	v_add_f64 v[66:67], v[34:35], -v[18:19]
	v_add_f64 v[74:75], v[52:53], -v[20:21]
	;; [unrolled: 1-line block ×5, first 2 shown]
	v_fma_f64 v[153:154], v[153:154], -0.5, v[40:41]
	v_fma_f64 v[111:112], v[143:144], s[8:9], v[70:71]
	v_fma_f64 v[121:122], v[139:140], s[8:9], v[93:94]
	v_fma_f64 v[70:71], v[123:124], -0.5, v[48:49]
	v_fma_f64 v[93:94], v[149:150], -0.5, v[50:51]
	;; [unrolled: 1-line block ×3, first 2 shown]
	v_add_f64 v[103:104], v[56:57], -v[0:1]
	v_fma_f64 v[0:1], v[127:128], s[6:7], v[91:92]
	v_fma_f64 v[56:57], v[64:65], s[6:7], v[72:73]
	;; [unrolled: 1-line block ×4, first 2 shown]
	v_add_f64 v[64:65], v[54:55], -v[22:23]
	v_fma_f64 v[78:79], v[14:15], s[16:17], v[62:63]
	v_add_f64 v[87:88], v[22:23], -v[54:55]
	v_add_f64 v[91:92], v[18:19], -v[34:35]
	v_fma_f64 v[113:114], v[145:146], -0.5, v[40:41]
	v_fma_f64 v[89:90], v[135:136], s[6:7], v[89:90]
	v_fma_f64 v[135:136], v[157:158], -0.5, v[42:43]
	v_fma_f64 v[62:63], v[14:15], s[4:5], v[62:63]
	v_add_f64 v[139:140], v[44:45], -v[24:25]
	v_add_f64 v[143:144], v[20:21], -v[52:53]
	;; [unrolled: 1-line block ×3, first 2 shown]
	v_fma_f64 v[60:61], v[60:61], -0.5, v[42:43]
	v_add_f64 v[74:75], v[74:75], v[76:77]
	v_fma_f64 v[133:134], v[155:156], s[16:17], v[153:154]
	v_fma_f64 v[149:150], v[141:142], s[4:5], v[70:71]
	;; [unrolled: 1-line block ×7, first 2 shown]
	v_add_f64 v[129:130], v[129:130], v[131:132]
	v_fma_f64 v[131:132], v[155:156], s[4:5], v[153:154]
	v_add_f64 v[64:65], v[64:65], v[66:67]
	v_fma_f64 v[76:77], v[141:142], s[14:15], v[78:79]
	v_add_f64 v[153:154], v[46:47], -v[38:39]
	v_add_f64 v[78:79], v[87:88], v[91:92]
	v_add_f64 v[157:158], v[26:27], -v[30:31]
	s_mov_b32 s21, 0xbfe9e377
	s_mov_b32 s20, s8
	v_fma_f64 v[62:63], v[141:142], s[0:1], v[62:63]
	v_fma_f64 v[141:142], v[139:140], s[4:5], v[135:136]
	;; [unrolled: 1-line block ×3, first 2 shown]
	v_add_f64 v[143:144], v[143:144], v[145:146]
	v_add_f64 v[145:146], v[38:39], -v[46:47]
	v_fma_f64 v[4:5], v[125:126], s[6:7], v[4:5]
	v_fma_f64 v[133:134], v[147:148], s[14:15], v[133:134]
	;; [unrolled: 1-line block ×5, first 2 shown]
	v_add_f64 v[72:73], v[36:37], -v[28:29]
	v_fma_f64 v[87:88], v[159:160], s[0:1], v[93:94]
	v_fma_f64 v[91:92], v[159:160], s[14:15], v[123:124]
	;; [unrolled: 1-line block ×4, first 2 shown]
	v_add_f64 v[113:114], v[36:37], -v[44:45]
	v_add_f64 v[123:124], v[28:29], -v[24:25]
	v_fma_f64 v[14:15], v[14:15], s[0:1], v[70:71]
	v_add_f64 v[70:71], v[30:31], -v[26:27]
	v_fma_f64 v[76:77], v[74:75], s[6:7], v[76:77]
	v_fma_f64 v[131:132], v[147:148], s[0:1], v[131:132]
	v_mul_f64 v[147:148], v[58:59], s[14:15]
	v_mul_f64 v[58:59], v[58:59], s[20:21]
	v_fma_f64 v[6:7], v[117:118], s[6:7], v[6:7]
	v_fma_f64 v[137:138], v[125:126], s[6:7], v[137:138]
	;; [unrolled: 1-line block ×3, first 2 shown]
	v_add_f64 v[115:116], v[0:1], v[119:120]
	v_add_f64 v[107:108], v[4:5], v[111:112]
	v_add_f64 v[111:112], v[4:5], -v[111:112]
	v_add_f64 v[117:118], v[2:3], v[127:128]
	v_fma_f64 v[66:67], v[64:65], s[6:7], v[66:67]
	v_fma_f64 v[64:65], v[64:65], s[6:7], v[68:69]
	;; [unrolled: 1-line block ×6, first 2 shown]
	v_mul_f64 v[91:92], v[10:11], s[16:17]
	v_mul_f64 v[10:11], v[10:11], s[18:19]
	v_add_f64 v[113:114], v[113:114], v[123:124]
	v_fma_f64 v[123:124], v[155:156], s[14:15], v[151:152]
	v_fma_f64 v[93:94], v[155:156], s[0:1], v[93:94]
	v_add_f64 v[151:152], v[153:154], v[157:158]
	v_fma_f64 v[141:142], v[72:73], s[0:1], v[141:142]
	v_fma_f64 v[72:73], v[72:73], s[14:15], v[135:136]
	;; [unrolled: 3-line block ×3, first 2 shown]
	v_mul_f64 v[149:150], v[76:77], s[0:1]
	v_fma_f64 v[147:148], v[89:90], s[20:21], v[147:148]
	v_fma_f64 v[169:170], v[89:90], s[0:1], v[58:59]
	v_add_f64 v[109:110], v[6:7], v[121:122]
	v_add_f64 v[119:120], v[0:1], -v[119:120]
	v_mul_f64 v[143:144], v[66:67], s[14:15]
	v_mul_f64 v[161:162], v[64:65], s[14:15]
	v_fma_f64 v[68:69], v[139:140], s[0:1], v[68:69]
	v_fma_f64 v[60:61], v[139:140], s[14:15], v[60:61]
	;; [unrolled: 1-line block ×3, first 2 shown]
	v_mul_f64 v[153:154], v[87:88], s[16:17]
	v_mul_f64 v[155:156], v[87:88], s[6:7]
	;; [unrolled: 1-line block ×5, first 2 shown]
	v_fma_f64 v[165:166], v[56:57], s[18:19], v[91:92]
	v_fma_f64 v[10:11], v[56:57], s[4:5], v[10:11]
	;; [unrolled: 1-line block ×8, first 2 shown]
	v_add_f64 v[113:114], v[6:7], -v[121:122]
	v_add_f64 v[121:122], v[2:3], -v[127:128]
	v_add_f64 v[131:132], v[137:138], v[147:148]
	v_add_f64 v[133:134], v[167:168], v[169:170]
	s_barrier
	v_fma_f64 v[74:75], v[135:136], s[6:7], v[68:69]
	v_fma_f64 v[78:79], v[135:136], s[6:7], v[60:61]
	;; [unrolled: 1-line block ×10, first 2 shown]
	v_add_f64 v[123:124], v[12:13], v[165:166]
	v_add_f64 v[125:126], v[8:9], v[10:11]
	v_add_f64 v[127:128], v[12:13], -v[165:166]
	v_add_f64 v[129:130], v[8:9], -v[10:11]
	;; [unrolled: 1-line block ×4, first 2 shown]
	v_mul_u32_u24_e32 v139, 10, v82
	v_cmp_gt_u32_e64 s0, 60, v82
	buffer_gl0_inv
	v_lshl_add_u32 v139, v139, 4, v95
	ds_write_b128 v139, v[99:102]
	ds_write_b128 v139, v[103:106] offset:80
	ds_write_b128 v139, v[107:110] offset:16
	;; [unrolled: 1-line block ×5, first 2 shown]
	v_add_f64 v[0:1], v[56:57], -v[60:61]
	v_add_f64 v[2:3], v[70:71], -v[76:77]
	;; [unrolled: 1-line block ×8, first 2 shown]
	ds_write_b128 v139, v[111:114] offset:96
	ds_write_b128 v139, v[119:122] offset:112
	ds_write_b128 v139, v[127:130] offset:128
	ds_write_b128 v139, v[135:138] offset:144
	s_and_saveexec_b32 s1, s0
	s_cbranch_execz .LBB0_15
; %bb.14:
	v_add_f64 v[42:43], v[42:43], v[46:47]
	v_add_f64 v[46:47], v[50:51], v[54:55]
	;; [unrolled: 1-line block ×8, first 2 shown]
	v_mul_i32_i24_e32 v42, 10, v86
	v_add_f64 v[30:31], v[38:39], v[30:31]
	v_add_f64 v[18:19], v[22:23], v[18:19]
	;; [unrolled: 1-line block ×16, first 2 shown]
	v_add_f64 v[34:35], v[36:37], -v[38:39]
	v_add_f64 v[38:39], v[36:37], v[38:39]
	v_add_f64 v[36:37], v[40:41], v[32:33]
	v_add_f64 v[32:33], v[40:41], -v[32:33]
	v_lshlrev_b32_e32 v40, 4, v42
	v_add3_u32 v40, 0, v40, v98
	ds_write_b128 v40, v[0:3] offset:96
	ds_write_b128 v40, v[8:11] offset:112
	;; [unrolled: 1-line block ×7, first 2 shown]
	ds_write_b128 v40, v[36:39]
	ds_write_b128 v40, v[32:35] offset:80
	ds_write_b128 v40, v[12:15] offset:144
.LBB0_15:
	s_or_b32 exec_lo, exec_lo, s1
	v_and_b32_e32 v16, 0xff, v82
	v_mov_b32_e32 v18, 15
	s_waitcnt lgkmcnt(0)
	s_barrier
	buffer_gl0_inv
	v_mul_lo_u16 v16, 0xcd, v16
	s_mov_b32 s4, 0x667f3bcd
	s_mov_b32 s5, 0xbfe6a09e
	;; [unrolled: 1-line block ×4, first 2 shown]
	v_lshrrev_b16 v16, 11, v16
	s_mov_b32 s8, 0xcf328d46
	s_mov_b32 s9, 0xbfed906b
	;; [unrolled: 1-line block ×4, first 2 shown]
	v_mul_lo_u16 v17, v16, 10
	s_mov_b32 s14, 0xa6aea964
	s_mov_b32 s15, 0x3fd87de2
	;; [unrolled: 1-line block ×4, first 2 shown]
	v_sub_nc_u16 v40, v82, v17
	v_mul_u32_u24_sdwa v17, v40, v18 dst_sel:DWORD dst_unused:UNUSED_PAD src0_sel:BYTE_0 src1_sel:DWORD
	v_lshlrev_b32_e32 v37, 4, v17
	s_clause 0xe
	global_load_dwordx4 v[17:20], v37, s[12:13]
	global_load_dwordx4 v[21:24], v37, s[12:13] offset:16
	global_load_dwordx4 v[25:28], v37, s[12:13] offset:32
	;; [unrolled: 1-line block ×14, first 2 shown]
	v_lshlrev_b32_e32 v37, 4, v86
	v_add3_u32 v87, 0, v37, v98
	ds_read_b128 v[99:102], v87
	ds_read_b128 v[103:106], v97 offset:3200
	ds_read_b128 v[107:110], v97 offset:4800
	;; [unrolled: 1-line block ×13, first 2 shown]
	ds_read_b128 v[155:158], v96
	ds_read_b128 v[159:162], v97 offset:24000
	s_waitcnt vmcnt(0) lgkmcnt(0)
	s_barrier
	buffer_gl0_inv
	v_mul_f64 v[37:38], v[101:102], v[19:20]
	v_mul_f64 v[19:20], v[99:100], v[19:20]
	;; [unrolled: 1-line block ×27, first 2 shown]
	v_fma_f64 v[37:38], v[99:100], v[17:18], v[37:38]
	v_fma_f64 v[17:18], v[101:102], v[17:18], -v[19:20]
	v_mul_f64 v[19:20], v[151:152], v[75:76]
	v_mul_f64 v[75:76], v[159:160], v[90:91]
	v_mul_f64 v[90:91], v[161:162], v[90:91]
	v_fma_f64 v[77:78], v[103:104], v[21:22], v[77:78]
	v_fma_f64 v[21:22], v[105:106], v[21:22], -v[23:24]
	v_fma_f64 v[23:24], v[107:108], v[25:26], v[92:93]
	v_fma_f64 v[25:26], v[109:110], v[25:26], -v[27:28]
	;; [unrolled: 2-line block ×13, first 2 shown]
	v_fma_f64 v[67:68], v[161:162], v[88:89], -v[75:76]
	v_fma_f64 v[75:76], v[159:160], v[88:89], v[90:91]
	v_add_f64 v[47:48], v[155:156], -v[47:48]
	v_add_f64 v[49:50], v[157:158], -v[49:50]
	;; [unrolled: 1-line block ×16, first 2 shown]
	v_fma_f64 v[88:89], v[155:156], 2.0, -v[47:48]
	v_fma_f64 v[90:91], v[157:158], 2.0, -v[49:50]
	;; [unrolled: 1-line block ×3, first 2 shown]
	v_add_f64 v[92:93], v[47:48], v[61:62]
	v_add_f64 v[51:52], v[49:50], -v[51:52]
	v_fma_f64 v[29:30], v[29:30], 2.0, -v[61:62]
	v_add_f64 v[101:102], v[57:58], -v[59:60]
	v_add_f64 v[99:100], v[63:64], v[69:70]
	v_fma_f64 v[61:62], v[77:78], 2.0, -v[63:64]
	v_fma_f64 v[21:22], v[21:22], 2.0, -v[57:58]
	v_add_f64 v[105:106], v[53:54], -v[55:56]
	v_add_f64 v[103:104], v[71:72], v[19:20]
	v_fma_f64 v[35:36], v[35:36], 2.0, -v[59:60]
	v_fma_f64 v[41:42], v[41:42], 2.0, -v[69:70]
	v_add_f64 v[107:108], v[73:74], v[67:68]
	v_add_f64 v[109:110], v[65:66], -v[75:76]
	v_fma_f64 v[37:38], v[37:38], 2.0, -v[71:72]
	v_fma_f64 v[17:18], v[17:18], 2.0, -v[53:54]
	;; [unrolled: 1-line block ×8, first 2 shown]
	v_add_f64 v[27:28], v[88:89], -v[27:28]
	v_fma_f64 v[45:46], v[47:48], 2.0, -v[92:93]
	v_fma_f64 v[47:48], v[49:50], 2.0, -v[51:52]
	v_add_f64 v[29:30], v[90:91], -v[29:30]
	v_fma_f64 v[55:56], v[57:58], 2.0, -v[101:102]
	v_fma_f64 v[49:50], v[63:64], 2.0, -v[99:100]
	v_fma_f64 v[67:68], v[101:102], s[6:7], v[51:52]
	v_fma_f64 v[53:54], v[53:54], 2.0, -v[105:106]
	v_fma_f64 v[57:58], v[71:72], 2.0, -v[103:104]
	v_add_f64 v[35:36], v[61:62], -v[35:36]
	v_add_f64 v[41:42], v[21:22], -v[41:42]
	v_fma_f64 v[59:60], v[73:74], 2.0, -v[107:108]
	v_fma_f64 v[63:64], v[65:66], 2.0, -v[109:110]
	v_fma_f64 v[65:66], v[99:100], s[6:7], v[92:93]
	v_fma_f64 v[69:70], v[107:108], s[6:7], v[103:104]
	v_add_f64 v[31:32], v[37:38], -v[31:32]
	v_add_f64 v[19:20], v[17:18], -v[19:20]
	v_fma_f64 v[71:72], v[109:110], s[6:7], v[105:106]
	v_add_f64 v[33:34], v[23:24], -v[33:34]
	v_add_f64 v[43:44], v[25:26], -v[43:44]
	v_fma_f64 v[88:89], v[88:89], 2.0, -v[27:28]
	v_fma_f64 v[90:91], v[90:91], 2.0, -v[29:30]
	v_fma_f64 v[75:76], v[55:56], s[4:5], v[47:48]
	v_fma_f64 v[73:74], v[49:50], s[4:5], v[45:46]
	;; [unrolled: 1-line block ×3, first 2 shown]
	v_fma_f64 v[61:62], v[61:62], 2.0, -v[35:36]
	v_fma_f64 v[21:22], v[21:22], 2.0, -v[41:42]
	v_fma_f64 v[77:78], v[59:60], s[4:5], v[57:58]
	v_fma_f64 v[111:112], v[63:64], s[4:5], v[53:54]
	v_add_f64 v[113:114], v[27:28], v[41:42]
	v_add_f64 v[115:116], v[29:30], -v[35:36]
	v_fma_f64 v[37:38], v[37:38], 2.0, -v[31:32]
	v_fma_f64 v[17:18], v[17:18], 2.0, -v[19:20]
	v_fma_f64 v[65:66], v[101:102], s[6:7], v[65:66]
	v_fma_f64 v[41:42], v[109:110], s[6:7], v[69:70]
	v_fma_f64 v[23:24], v[23:24], 2.0, -v[33:34]
	v_fma_f64 v[25:26], v[25:26], 2.0, -v[43:44]
	v_add_f64 v[35:36], v[31:32], v[43:44]
	v_add_f64 v[33:34], v[19:20], -v[33:34]
	v_fma_f64 v[43:44], v[107:108], s[4:5], v[71:72]
	v_fma_f64 v[75:76], v[49:50], s[4:5], v[75:76]
	;; [unrolled: 1-line block ×5, first 2 shown]
	v_add_f64 v[59:60], v[88:89], -v[61:62]
	v_add_f64 v[61:62], v[90:91], -v[21:22]
	v_fma_f64 v[69:70], v[27:28], 2.0, -v[113:114]
	v_fma_f64 v[71:72], v[29:30], 2.0, -v[115:116]
	;; [unrolled: 1-line block ×4, first 2 shown]
	v_add_f64 v[21:22], v[37:38], -v[23:24]
	v_add_f64 v[23:24], v[17:18], -v[25:26]
	v_fma_f64 v[51:52], v[31:32], 2.0, -v[35:36]
	v_fma_f64 v[19:20], v[19:20], 2.0, -v[33:34]
	;; [unrolled: 1-line block ×6, first 2 shown]
	v_fma_f64 v[25:26], v[35:36], s[6:7], v[113:114]
	v_fma_f64 v[105:106], v[43:44], s[18:19], v[67:68]
	v_mov_b32_e32 v27, 0xa0
	v_fma_f64 v[47:48], v[57:58], 2.0, -v[49:50]
	v_fma_f64 v[45:46], v[53:54], 2.0, -v[55:56]
	v_fma_f64 v[53:54], v[33:34], s[6:7], v[115:116]
	v_fma_f64 v[57:58], v[41:42], s[18:19], v[65:66]
	v_fma_f64 v[88:89], v[88:89], 2.0, -v[59:60]
	v_fma_f64 v[90:91], v[90:91], 2.0, -v[61:62]
	v_fma_f64 v[121:122], v[49:50], s[14:15], v[73:74]
	v_fma_f64 v[123:124], v[55:56], s[14:15], v[75:76]
	;; [unrolled: 4-line block ×3, first 2 shown]
	v_fma_f64 v[117:118], v[63:64], s[16:17], v[77:78]
	v_fma_f64 v[119:120], v[99:100], s[16:17], v[92:93]
	v_add_f64 v[28:29], v[59:60], v[23:24]
	v_add_f64 v[30:31], v[61:62], -v[21:22]
	v_mul_u32_u24_sdwa v79, v16, v27 dst_sel:DWORD dst_unused:UNUSED_PAD src0_sel:WORD_0 src1_sel:DWORD
	v_fma_f64 v[24:25], v[33:34], s[6:7], v[25:26]
	v_fma_f64 v[38:39], v[41:42], s[16:17], v[105:106]
	v_or_b32_sdwa v40, v79, v40 dst_sel:DWORD dst_unused:UNUSED_PAD src0_sel:DWORD src1_sel:BYTE_0
	v_fma_f64 v[125:126], v[47:48], s[8:9], v[101:102]
	v_fma_f64 v[127:128], v[45:46], s[8:9], v[103:104]
	v_fma_f64 v[26:27], v[35:36], s[4:5], v[53:54]
	v_fma_f64 v[36:37], v[43:44], s[14:15], v[57:58]
	v_lshlrev_b32_e32 v40, 4, v40
	v_fma_f64 v[32:33], v[55:56], s[18:19], v[121:122]
	v_fma_f64 v[34:35], v[49:50], s[8:9], v[123:124]
	v_add_f64 v[41:42], v[88:89], -v[107:108]
	v_add_f64 v[43:44], v[90:91], -v[17:18]
	v_fma_f64 v[16:17], v[19:20], s[6:7], v[109:110]
	v_fma_f64 v[18:19], v[51:52], s[4:5], v[111:112]
	;; [unrolled: 1-line block ×4, first 2 shown]
	v_fma_f64 v[49:50], v[59:60], 2.0, -v[28:29]
	v_fma_f64 v[51:52], v[61:62], 2.0, -v[30:31]
	v_add3_u32 v40, 0, v40, v98
	v_fma_f64 v[53:54], v[113:114], 2.0, -v[24:25]
	v_fma_f64 v[59:60], v[67:68], 2.0, -v[38:39]
	v_fma_f64 v[45:46], v[45:46], s[14:15], v[125:126]
	v_fma_f64 v[47:48], v[47:48], s[16:17], v[127:128]
	v_fma_f64 v[55:56], v[115:116], 2.0, -v[26:27]
	v_fma_f64 v[57:58], v[65:66], 2.0, -v[36:37]
	;; [unrolled: 1-line block ×12, first 2 shown]
	ds_write_b128 v40, v[28:31] offset:1920
	ds_write_b128 v40, v[24:27] offset:2240
	;; [unrolled: 1-line block ×10, first 2 shown]
	ds_write_b128 v40, v[61:64]
	ds_write_b128 v40, v[65:68] offset:320
	ds_write_b128 v40, v[69:72] offset:480
	;; [unrolled: 1-line block ×5, first 2 shown]
	s_waitcnt lgkmcnt(0)
	s_barrier
	buffer_gl0_inv
	ds_read_b128 v[40:43], v96
	ds_read_b128 v[44:47], v97 offset:2560
	ds_read_b128 v[72:75], v97 offset:5120
	ds_read_b128 v[76:79], v97 offset:7680
	ds_read_b128 v[68:71], v97 offset:10240
	ds_read_b128 v[48:51], v97 offset:12800
	ds_read_b128 v[60:63], v97 offset:15360
	ds_read_b128 v[52:55], v97 offset:17920
	ds_read_b128 v[64:67], v97 offset:20480
	ds_read_b128 v[56:59], v97 offset:23040
	s_and_saveexec_b32 s1, s0
	s_cbranch_execz .LBB0_17
; %bb.16:
	ds_read_b128 v[20:23], v97 offset:4160
	ds_read_b128 v[28:31], v97 offset:6720
	ds_read_b128 v[32:35], v97 offset:9280
	ds_read_b128 v[24:27], v97 offset:11840
	ds_read_b128 v[36:39], v97 offset:14400
	ds_read_b128 v[0:3], v97 offset:16960
	ds_read_b128 v[8:11], v97 offset:19520
	ds_read_b128 v[4:7], v97 offset:22080
	ds_read_b128 v[16:19], v87
	ds_read_b128 v[12:15], v97 offset:24640
.LBB0_17:
	s_or_b32 exec_lo, exec_lo, s1
	v_mul_u32_u24_e32 v87, 9, v82
	s_mov_b32 s6, 0x134454ff
	s_mov_b32 s7, 0xbfee6f0e
	s_mov_b32 s15, 0x3fee6f0e
	s_mov_b32 s14, s6
	v_lshlrev_b32_e32 v87, 4, v87
	s_mov_b32 s8, 0x4755a5e
	s_mov_b32 s9, 0xbfe2cf23
	s_mov_b32 s17, 0x3fe2cf23
	s_mov_b32 s16, s8
	v_add_co_u32 v87, s1, s12, v87
	v_add_co_ci_u32_e64 v88, null, s13, 0, s1
	s_mov_b32 s4, 0x372fe950
	v_add_co_u32 v114, s1, 0x960, v87
	v_add_co_ci_u32_e64 v115, s1, 0, v88, s1
	v_add_co_u32 v106, s1, 0x800, v87
	v_add_co_ci_u32_e64 v107, s1, 0, v88, s1
	;; [unrolled: 2-line block ×3, first 2 shown]
	s_clause 0x8
	global_load_dwordx4 v[87:90], v[114:115], off offset:32
	global_load_dwordx4 v[91:94], v[106:107], off offset:416
	;; [unrolled: 1-line block ×9, first 2 shown]
	s_mov_b32 s5, 0x3fd3c6ef
	s_mov_b32 s18, 0x9b97f4a8
	;; [unrolled: 1-line block ×7, first 2 shown]
	s_waitcnt vmcnt(0) lgkmcnt(0)
	s_barrier
	buffer_gl0_inv
	v_mul_f64 v[126:127], v[76:77], v[89:90]
	v_mul_f64 v[128:129], v[48:49], v[93:94]
	;; [unrolled: 1-line block ×18, first 2 shown]
	v_fma_f64 v[78:79], v[78:79], v[87:88], -v[126:127]
	v_fma_f64 v[50:51], v[50:51], v[91:92], -v[128:129]
	;; [unrolled: 1-line block ×5, first 2 shown]
	v_fma_f64 v[76:77], v[76:77], v[87:88], v[89:90]
	v_fma_f64 v[48:49], v[48:49], v[91:92], v[93:94]
	;; [unrolled: 1-line block ×5, first 2 shown]
	v_fma_f64 v[74:75], v[74:75], v[110:111], -v[112:113]
	v_fma_f64 v[68:69], v[68:69], v[114:115], v[138:139]
	v_fma_f64 v[70:71], v[70:71], v[114:115], -v[116:117]
	v_fma_f64 v[60:61], v[60:61], v[118:119], v[140:141]
	v_fma_f64 v[66:67], v[66:67], v[122:123], -v[142:143]
	v_fma_f64 v[62:63], v[62:63], v[118:119], -v[120:121]
	v_fma_f64 v[64:65], v[64:65], v[122:123], v[124:125]
	v_fma_f64 v[44:45], v[44:45], v[106:107], v[108:109]
	v_add_f64 v[134:135], v[78:79], -v[50:51]
	v_add_f64 v[87:88], v[50:51], v[54:55]
	v_add_f64 v[89:90], v[78:79], v[58:59]
	v_add_f64 v[132:133], v[78:79], -v[58:59]
	v_add_f64 v[136:137], v[58:59], -v[54:55]
	;; [unrolled: 1-line block ×3, first 2 shown]
	v_add_f64 v[106:107], v[48:49], v[52:53]
	v_add_f64 v[108:109], v[76:77], v[56:57]
	v_add_f64 v[110:111], v[76:77], -v[56:57]
	v_add_f64 v[112:113], v[48:49], -v[52:53]
	v_add_f64 v[91:92], v[40:41], v[72:73]
	v_add_f64 v[102:103], v[72:73], -v[68:69]
	v_add_f64 v[93:94], v[68:69], v[60:61]
	v_add_f64 v[130:131], v[74:75], v[66:67]
	;; [unrolled: 1-line block ×3, first 2 shown]
	v_add_f64 v[104:105], v[64:65], -v[60:61]
	v_add_f64 v[114:115], v[72:73], v[64:65]
	v_add_f64 v[138:139], v[50:51], -v[78:79]
	v_add_f64 v[140:141], v[54:55], -v[58:59]
	v_add_f64 v[120:121], v[42:43], v[74:75]
	v_add_f64 v[98:99], v[74:75], -v[66:67]
	v_add_f64 v[100:101], v[70:71], -v[62:63]
	;; [unrolled: 1-line block ×3, first 2 shown]
	v_fma_f64 v[87:88], v[87:88], -0.5, v[46:47]
	v_fma_f64 v[89:90], v[89:90], -0.5, v[46:47]
	v_add_f64 v[46:47], v[46:47], v[78:79]
	v_add_f64 v[118:119], v[60:61], -v[64:65]
	v_add_f64 v[72:73], v[72:73], -v[64:65]
	v_fma_f64 v[106:107], v[106:107], -0.5, v[44:45]
	v_fma_f64 v[108:109], v[108:109], -0.5, v[44:45]
	v_add_f64 v[44:45], v[44:45], v[76:77]
	v_add_f64 v[124:125], v[68:69], -v[60:61]
	v_add_f64 v[150:151], v[76:77], -v[48:49]
	;; [unrolled: 1-line block ×5, first 2 shown]
	v_fma_f64 v[78:79], v[93:94], -0.5, v[40:41]
	v_add_f64 v[68:69], v[91:92], v[68:69]
	v_fma_f64 v[40:41], v[114:115], -0.5, v[40:41]
	v_add_f64 v[91:92], v[102:103], v[104:105]
	v_fma_f64 v[93:94], v[122:123], -0.5, v[42:43]
	v_fma_f64 v[42:43], v[130:131], -0.5, v[42:43]
	v_add_f64 v[102:103], v[134:135], v[136:137]
	v_add_f64 v[104:105], v[138:139], v[140:141]
	v_add_f64 v[126:127], v[74:75], -v[70:71]
	v_fma_f64 v[146:147], v[110:111], s[14:15], v[87:88]
	v_fma_f64 v[148:149], v[112:113], s[6:7], v[89:90]
	;; [unrolled: 1-line block ×4, first 2 shown]
	v_add_f64 v[74:75], v[70:71], -v[74:75]
	v_fma_f64 v[114:115], v[132:133], s[6:7], v[106:107]
	v_fma_f64 v[122:123], v[142:143], s[14:15], v[108:109]
	;; [unrolled: 1-line block ×4, first 2 shown]
	v_add_f64 v[70:71], v[120:121], v[70:71]
	v_add_f64 v[44:45], v[44:45], v[48:49]
	;; [unrolled: 1-line block ×3, first 2 shown]
	v_add_f64 v[128:129], v[66:67], -v[62:63]
	v_add_f64 v[48:49], v[150:151], v[152:153]
	v_add_f64 v[76:77], v[76:77], v[154:155]
	v_fma_f64 v[50:51], v[98:99], s[6:7], v[78:79]
	v_fma_f64 v[78:79], v[98:99], s[14:15], v[78:79]
	v_add_f64 v[144:145], v[62:63], -v[66:67]
	v_add_f64 v[60:61], v[68:69], v[60:61]
	v_fma_f64 v[130:131], v[112:113], s[16:17], v[146:147]
	v_fma_f64 v[134:135], v[110:111], s[16:17], v[148:149]
	v_fma_f64 v[89:90], v[110:111], s[8:9], v[89:90]
	v_fma_f64 v[87:88], v[112:113], s[8:9], v[87:88]
	v_add_f64 v[110:111], v[116:117], v[118:119]
	v_fma_f64 v[112:113], v[100:101], s[14:15], v[40:41]
	v_fma_f64 v[40:41], v[100:101], s[6:7], v[40:41]
	;; [unrolled: 1-line block ×10, first 2 shown]
	v_add_f64 v[62:63], v[70:71], v[62:63]
	v_add_f64 v[44:45], v[44:45], v[52:53]
	;; [unrolled: 1-line block ×3, first 2 shown]
	v_fma_f64 v[50:51], v[100:101], s[8:9], v[50:51]
	v_fma_f64 v[52:53], v[100:101], s[16:17], v[78:79]
	v_add_f64 v[74:75], v[74:75], v[144:145]
	v_add_f64 v[60:61], v[60:61], v[64:65]
	v_fma_f64 v[122:123], v[102:103], s[4:5], v[130:131]
	v_fma_f64 v[130:131], v[104:105], s[4:5], v[134:135]
	;; [unrolled: 1-line block ×4, first 2 shown]
	v_add_f64 v[102:103], v[126:127], v[128:129]
	v_fma_f64 v[54:55], v[98:99], s[8:9], v[112:113]
	v_fma_f64 v[40:41], v[98:99], s[16:17], v[40:41]
	v_fma_f64 v[68:69], v[124:125], s[16:17], v[116:117]
	v_fma_f64 v[70:71], v[124:125], s[8:9], v[93:94]
	v_fma_f64 v[78:79], v[72:73], s[16:17], v[118:119]
	v_fma_f64 v[42:43], v[72:73], s[8:9], v[42:43]
	v_fma_f64 v[72:73], v[48:49], s[4:5], v[114:115]
	v_fma_f64 v[93:94], v[76:77], s[4:5], v[120:121]
	v_fma_f64 v[76:77], v[76:77], s[4:5], v[108:109]
	v_fma_f64 v[48:49], v[48:49], s[4:5], v[106:107]
	v_add_f64 v[62:63], v[62:63], v[66:67]
	v_add_f64 v[56:57], v[44:45], v[56:57]
	;; [unrolled: 1-line block ×3, first 2 shown]
	v_fma_f64 v[66:67], v[91:92], s[4:5], v[50:51]
	v_fma_f64 v[91:92], v[91:92], s[4:5], v[52:53]
	v_mul_f64 v[98:99], v[122:123], s[8:9]
	v_mul_f64 v[108:109], v[122:123], s[18:19]
	;; [unrolled: 1-line block ×8, first 2 shown]
	v_fma_f64 v[68:69], v[102:103], s[4:5], v[68:69]
	v_fma_f64 v[102:103], v[102:103], s[4:5], v[70:71]
	v_fma_f64 v[114:115], v[110:111], s[4:5], v[54:55]
	v_fma_f64 v[40:41], v[110:111], s[4:5], v[40:41]
	v_fma_f64 v[78:79], v[74:75], s[4:5], v[78:79]
	v_fma_f64 v[110:111], v[74:75], s[4:5], v[42:43]
	v_add_f64 v[42:43], v[60:61], v[56:57]
	v_add_f64 v[44:45], v[62:63], v[58:59]
	v_add_f64 v[46:47], v[60:61], -v[56:57]
	v_fma_f64 v[70:71], v[72:73], s[18:19], v[98:99]
	v_fma_f64 v[72:73], v[72:73], s[16:17], v[108:109]
	;; [unrolled: 1-line block ×8, first 2 shown]
	v_add_f64 v[48:49], v[62:63], -v[58:59]
	v_add_f64 v[50:51], v[66:67], v[70:71]
	v_add_f64 v[52:53], v[68:69], v[72:73]
	;; [unrolled: 1-line block ×8, first 2 shown]
	v_add_f64 v[66:67], v[66:67], -v[70:71]
	v_add_f64 v[68:69], v[68:69], -v[72:73]
	;; [unrolled: 1-line block ×8, first 2 shown]
	v_mov_b32_e32 v41, 0
	ds_write_b128 v97, v[42:45]
	ds_write_b128 v97, v[46:49] offset:12800
	ds_write_b128 v97, v[50:53] offset:2560
	;; [unrolled: 1-line block ×9, first 2 shown]
	s_and_saveexec_b32 s1, s0
	s_cbranch_execz .LBB0_19
; %bb.18:
	v_subrev_nc_u32_e32 v40, 60, v82
	v_cndmask_b32_e64 v40, v40, v86, s0
	v_mul_i32_i24_e32 v40, 9, v40
	v_lshlrev_b64 v[40:41], 4, v[40:41]
	v_add_co_u32 v40, s0, s12, v40
	v_add_co_ci_u32_e64 v41, s0, s13, v41, s0
	v_add_co_u32 v72, s0, 0x800, v40
	v_add_co_ci_u32_e64 v73, s0, 0, v41, s0
	;; [unrolled: 2-line block ×4, first 2 shown]
	s_clause 0x8
	global_load_dwordx4 v[40:43], v[72:73], off offset:416
	global_load_dwordx4 v[44:47], v[68:69], off offset:32
	global_load_dwordx4 v[48:51], v[60:61], off offset:32
	global_load_dwordx4 v[52:55], v[72:73], off offset:480
	global_load_dwordx4 v[56:59], v[60:61], off offset:16
	global_load_dwordx4 v[60:63], v[60:61], off offset:48
	global_load_dwordx4 v[64:67], v[68:69], off offset:48
	global_load_dwordx4 v[68:71], v[68:69], off offset:16
	global_load_dwordx4 v[72:75], v[72:73], off offset:352
	s_waitcnt vmcnt(8)
	v_mul_f64 v[76:77], v[36:37], v[42:43]
	s_waitcnt vmcnt(7)
	v_mul_f64 v[78:79], v[8:9], v[46:47]
	;; [unrolled: 2-line block ×4, first 2 shown]
	v_mul_f64 v[50:51], v[34:35], v[50:51]
	v_mul_f64 v[42:43], v[38:39], v[42:43]
	;; [unrolled: 1-line block ×4, first 2 shown]
	s_waitcnt vmcnt(0)
	v_mul_f64 v[102:103], v[20:21], v[74:75]
	v_mul_f64 v[91:92], v[28:29], v[58:59]
	;; [unrolled: 1-line block ×10, first 2 shown]
	v_fma_f64 v[38:39], v[38:39], v[40:41], -v[76:77]
	v_fma_f64 v[10:11], v[10:11], v[44:45], -v[78:79]
	;; [unrolled: 1-line block ×4, first 2 shown]
	v_fma_f64 v[32:33], v[32:33], v[48:49], v[50:51]
	v_fma_f64 v[36:37], v[36:37], v[40:41], v[42:43]
	;; [unrolled: 1-line block ×4, first 2 shown]
	v_fma_f64 v[22:23], v[22:23], v[72:73], -v[102:103]
	v_fma_f64 v[30:31], v[30:31], v[56:57], -v[91:92]
	;; [unrolled: 1-line block ×5, first 2 shown]
	v_fma_f64 v[28:29], v[28:29], v[56:57], v[58:59]
	v_fma_f64 v[4:5], v[4:5], v[64:65], v[66:67]
	;; [unrolled: 1-line block ×5, first 2 shown]
	v_add_f64 v[40:41], v[38:39], v[10:11]
	v_add_f64 v[66:67], v[38:39], -v[10:11]
	v_add_f64 v[42:43], v[34:35], v[14:15]
	v_add_f64 v[68:69], v[34:35], -v[14:15]
	v_add_f64 v[70:71], v[34:35], -v[38:39]
	v_add_f64 v[50:51], v[32:33], v[12:13]
	v_add_f64 v[48:49], v[36:37], v[8:9]
	v_add_f64 v[52:53], v[32:33], -v[12:13]
	v_add_f64 v[54:55], v[36:37], -v[8:9]
	;; [unrolled: 1-line block ×3, first 2 shown]
	v_add_f64 v[78:79], v[30:31], v[6:7]
	v_add_f64 v[56:57], v[26:27], v[2:3]
	v_add_f64 v[91:92], v[38:39], -v[34:35]
	v_add_f64 v[93:94], v[10:11], -v[14:15]
	v_add_f64 v[104:105], v[28:29], v[4:5]
	v_add_f64 v[102:103], v[24:25], v[0:1]
	v_add_f64 v[58:59], v[28:29], -v[4:5]
	v_add_f64 v[98:99], v[18:19], v[30:31]
	v_add_f64 v[106:107], v[28:29], -v[24:25]
	v_add_f64 v[112:113], v[24:25], -v[28:29]
	v_add_f64 v[28:29], v[16:17], v[28:29]
	v_add_f64 v[44:45], v[30:31], -v[26:27]
	v_fma_f64 v[40:41], v[40:41], -0.5, v[22:23]
	v_add_f64 v[46:47], v[6:7], -v[2:3]
	v_fma_f64 v[42:43], v[42:43], -0.5, v[22:23]
	v_add_f64 v[22:23], v[22:23], v[34:35]
	v_add_f64 v[60:61], v[24:25], -v[0:1]
	v_fma_f64 v[50:51], v[50:51], -0.5, v[20:21]
	v_fma_f64 v[48:49], v[48:49], -0.5, v[20:21]
	v_add_f64 v[20:21], v[20:21], v[32:33]
	v_add_f64 v[62:63], v[32:33], -v[36:37]
	v_add_f64 v[64:65], v[12:13], -v[8:9]
	;; [unrolled: 1-line block ×7, first 2 shown]
	v_fma_f64 v[32:33], v[56:57], -0.5, v[18:19]
	v_fma_f64 v[18:19], v[78:79], -0.5, v[18:19]
	v_add_f64 v[56:57], v[70:71], v[72:73]
	v_add_f64 v[70:71], v[91:92], v[93:94]
	;; [unrolled: 1-line block ×4, first 2 shown]
	v_add_f64 v[108:109], v[4:5], -v[0:1]
	v_fma_f64 v[34:35], v[52:53], s[6:7], v[40:41]
	v_fma_f64 v[40:41], v[52:53], s[14:15], v[40:41]
	;; [unrolled: 1-line block ×4, first 2 shown]
	v_add_f64 v[22:23], v[22:23], v[38:39]
	v_fma_f64 v[78:79], v[66:67], s[6:7], v[50:51]
	v_fma_f64 v[72:73], v[68:69], s[14:15], v[48:49]
	;; [unrolled: 1-line block ×4, first 2 shown]
	v_add_f64 v[20:21], v[20:21], v[36:37]
	v_add_f64 v[114:115], v[0:1], -v[4:5]
	v_add_f64 v[44:45], v[44:45], v[46:47]
	v_add_f64 v[46:47], v[62:63], v[64:65]
	;; [unrolled: 1-line block ×3, first 2 shown]
	v_add_f64 v[76:77], v[2:3], -v[6:7]
	v_fma_f64 v[28:29], v[58:59], s[6:7], v[32:33]
	v_fma_f64 v[36:37], v[60:61], s[14:15], v[18:19]
	;; [unrolled: 1-line block ×4, first 2 shown]
	v_add_f64 v[2:3], v[26:27], v[2:3]
	v_add_f64 v[0:1], v[24:25], v[0:1]
	v_fma_f64 v[34:35], v[54:55], s[8:9], v[34:35]
	v_fma_f64 v[40:41], v[54:55], s[16:17], v[40:41]
	v_fma_f64 v[91:92], v[52:53], s[8:9], v[100:101]
	v_fma_f64 v[42:43], v[52:53], s[16:17], v[42:43]
	v_fma_f64 v[52:53], v[102:103], -0.5, v[16:17]
	v_fma_f64 v[16:17], v[104:105], -0.5, v[16:17]
	v_fma_f64 v[38:39], v[66:67], s[16:17], v[72:73]
	v_fma_f64 v[64:65], v[68:69], s[16:17], v[78:79]
	;; [unrolled: 1-line block ×4, first 2 shown]
	v_add_f64 v[10:11], v[22:23], v[10:11]
	v_add_f64 v[8:9], v[20:21], v[8:9]
	;; [unrolled: 1-line block ×4, first 2 shown]
	v_fma_f64 v[20:21], v[60:61], s[8:9], v[28:29]
	v_fma_f64 v[22:23], v[58:59], s[8:9], v[36:37]
	;; [unrolled: 1-line block ×4, first 2 shown]
	v_add_f64 v[6:7], v[2:3], v[6:7]
	v_add_f64 v[4:5], v[0:1], v[4:5]
	v_fma_f64 v[34:35], v[56:57], s[4:5], v[34:35]
	v_fma_f64 v[40:41], v[56:57], s[4:5], v[40:41]
	;; [unrolled: 1-line block ×8, first 2 shown]
	v_add_f64 v[70:71], v[106:107], v[108:109]
	v_fma_f64 v[26:27], v[46:47], s[4:5], v[38:39]
	v_fma_f64 v[28:29], v[62:63], s[4:5], v[64:65]
	;; [unrolled: 1-line block ×4, first 2 shown]
	v_add_f64 v[10:11], v[10:11], v[14:15]
	v_add_f64 v[8:9], v[8:9], v[12:13]
	v_fma_f64 v[12:13], v[44:45], s[4:5], v[20:21]
	v_fma_f64 v[20:21], v[54:55], s[4:5], v[22:23]
	;; [unrolled: 1-line block ×4, first 2 shown]
	v_mul_f64 v[38:39], v[34:35], s[22:23]
	v_mul_f64 v[50:51], v[40:41], s[18:19]
	;; [unrolled: 1-line block ×4, first 2 shown]
	v_fma_f64 v[56:57], v[110:111], s[16:17], v[56:57]
	v_fma_f64 v[58:59], v[30:31], s[16:17], v[68:69]
	;; [unrolled: 1-line block ×4, first 2 shown]
	v_mul_f64 v[40:41], v[40:41], s[8:9]
	v_mul_f64 v[42:43], v[42:43], s[6:7]
	;; [unrolled: 1-line block ×4, first 2 shown]
	v_add_f64 v[2:3], v[6:7], -v[10:11]
	v_add_f64 v[0:1], v[4:5], -v[8:9]
	v_add_f64 v[6:7], v[6:7], v[10:11]
	v_add_f64 v[4:5], v[4:5], v[8:9]
	v_fma_f64 v[38:39], v[26:27], s[16:17], v[38:39]
	v_fma_f64 v[44:45], v[28:29], s[14:15], v[46:47]
	;; [unrolled: 1-line block ×12, first 2 shown]
	v_add_f64 v[10:11], v[12:13], -v[38:39]
	v_add_f64 v[26:27], v[12:13], v[38:39]
	v_add_f64 v[30:31], v[20:21], v[44:45]
	;; [unrolled: 1-line block ×4, first 2 shown]
	v_add_f64 v[22:23], v[24:25], -v[48:49]
	v_add_f64 v[14:15], v[20:21], -v[44:45]
	;; [unrolled: 1-line block ×3, first 2 shown]
	v_add_f64 v[36:37], v[58:59], v[40:41]
	v_add_f64 v[20:21], v[58:59], -v[40:41]
	v_add_f64 v[32:33], v[16:17], v[42:43]
	v_add_f64 v[28:29], v[56:57], v[52:53]
	;; [unrolled: 1-line block ×3, first 2 shown]
	v_add_f64 v[16:17], v[16:17], -v[42:43]
	v_add_f64 v[12:13], v[56:57], -v[52:53]
	;; [unrolled: 1-line block ×3, first 2 shown]
	ds_write_b128 v97, v[4:7] offset:1600
	ds_write_b128 v97, v[0:3] offset:14400
	;; [unrolled: 1-line block ×10, first 2 shown]
.LBB0_19:
	s_or_b32 exec_lo, exec_lo, s1
	s_waitcnt lgkmcnt(0)
	s_barrier
	buffer_gl0_inv
	ds_read_b128 v[4:7], v96
	v_sub_nc_u32_e32 v12, v95, v83
	s_add_u32 s1, s12, 0x6360
	s_addc_u32 s4, s13, 0
	s_mov_b32 s5, exec_lo
                                        ; implicit-def: $vgpr0_vgpr1
                                        ; implicit-def: $vgpr8_vgpr9
                                        ; implicit-def: $vgpr10_vgpr11
	v_cmpx_ne_u32_e32 0, v82
	s_xor_b32 s5, exec_lo, s5
	s_cbranch_execz .LBB0_21
; %bb.20:
	v_mov_b32_e32 v83, 0
	v_lshlrev_b64 v[0:1], 4, v[82:83]
	v_add_co_u32 v0, s0, s1, v0
	v_add_co_ci_u32_e64 v1, s0, s4, v1, s0
	global_load_dwordx4 v[13:16], v[0:1], off
	ds_read_b128 v[0:3], v12 offset:25600
	s_waitcnt lgkmcnt(0)
	v_add_f64 v[8:9], v[4:5], -v[0:1]
	v_add_f64 v[10:11], v[6:7], v[2:3]
	v_add_f64 v[2:3], v[6:7], -v[2:3]
	v_add_f64 v[0:1], v[4:5], v[0:1]
	v_mul_f64 v[6:7], v[8:9], 0.5
	v_mul_f64 v[4:5], v[10:11], 0.5
	v_mul_f64 v[2:3], v[2:3], 0.5
	s_waitcnt vmcnt(0)
	v_mul_f64 v[8:9], v[6:7], v[15:16]
	v_fma_f64 v[10:11], v[4:5], v[15:16], v[2:3]
	v_fma_f64 v[2:3], v[4:5], v[15:16], -v[2:3]
	v_fma_f64 v[17:18], v[0:1], 0.5, v[8:9]
	v_fma_f64 v[0:1], v[0:1], 0.5, -v[8:9]
	v_fma_f64 v[10:11], -v[13:14], v[6:7], v[10:11]
	v_fma_f64 v[2:3], -v[13:14], v[6:7], v[2:3]
	v_fma_f64 v[8:9], v[4:5], v[13:14], v[17:18]
	v_fma_f64 v[0:1], -v[4:5], v[13:14], v[0:1]
                                        ; implicit-def: $vgpr4_vgpr5
.LBB0_21:
	s_andn2_saveexec_b32 s0, s5
	s_cbranch_execz .LBB0_23
; %bb.22:
	ds_read_b64 v[13:14], v95 offset:12808
	s_waitcnt lgkmcnt(1)
	v_add_f64 v[8:9], v[4:5], v[6:7]
	v_add_f64 v[0:1], v[4:5], -v[6:7]
	v_mov_b32_e32 v10, 0
	v_mov_b32_e32 v11, 0
	;; [unrolled: 1-line block ×4, first 2 shown]
	s_waitcnt lgkmcnt(0)
	v_xor_b32_e32 v14, 0x80000000, v14
	ds_write_b64 v95, v[13:14] offset:12808
.LBB0_23:
	s_or_b32 exec_lo, exec_lo, s0
	v_mov_b32_e32 v87, 0
	v_lshl_add_u32 v25, v86, 4, v95
	ds_write2_b64 v96, v[8:9], v[10:11] offset1:1
	ds_write_b128 v12, v[0:3] offset:25600
	s_waitcnt lgkmcnt(2)
	v_lshlrev_b64 v[4:5], 4, v[86:87]
	v_add_nc_u32_e32 v86, 0xc8, v82
	v_lshlrev_b64 v[13:14], 4, v[86:87]
	v_add_co_u32 v4, s0, s1, v4
	v_add_co_ci_u32_e64 v5, s0, s4, v5, s0
	v_add_nc_u32_e32 v86, 0x12c, v82
	v_add_co_u32 v13, s0, s1, v13
	global_load_dwordx4 v[4:7], v[4:5], off
	v_add_co_ci_u32_e64 v14, s0, s4, v14, s0
	v_lshlrev_b64 v[17:18], 4, v[86:87]
	v_add_nc_u32_e32 v86, 0x190, v82
	global_load_dwordx4 v[13:16], v[13:14], off
	ds_read_b128 v[0:3], v25
	ds_read_b128 v[8:11], v12 offset:24000
	v_add_co_u32 v17, s0, s1, v17
	v_add_co_ci_u32_e64 v18, s0, s4, v18, s0
	global_load_dwordx4 v[17:20], v[17:18], off
	s_waitcnt lgkmcnt(0)
	v_add_f64 v[21:22], v[0:1], -v[8:9]
	v_add_f64 v[23:24], v[2:3], v[10:11]
	v_add_f64 v[2:3], v[2:3], -v[10:11]
	v_add_f64 v[0:1], v[0:1], v[8:9]
	v_mul_f64 v[10:11], v[21:22], 0.5
	v_mul_f64 v[21:22], v[23:24], 0.5
	;; [unrolled: 1-line block ×3, first 2 shown]
	s_waitcnt vmcnt(2)
	v_mul_f64 v[8:9], v[10:11], v[6:7]
	v_fma_f64 v[23:24], v[21:22], v[6:7], v[2:3]
	v_fma_f64 v[2:3], v[21:22], v[6:7], -v[2:3]
	v_fma_f64 v[6:7], v[0:1], 0.5, v[8:9]
	v_fma_f64 v[0:1], v[0:1], 0.5, -v[8:9]
	v_fma_f64 v[8:9], -v[4:5], v[10:11], v[23:24]
	v_fma_f64 v[2:3], -v[4:5], v[10:11], v[2:3]
	v_lshlrev_b64 v[10:11], 4, v[86:87]
	v_add_nc_u32_e32 v86, 0x1f4, v82
	v_fma_f64 v[6:7], v[21:22], v[4:5], v[6:7]
	v_fma_f64 v[0:1], -v[21:22], v[4:5], v[0:1]
	ds_write2_b64 v25, v[6:7], v[8:9] offset1:1
	ds_write_b128 v12, v[0:3] offset:24000
	v_add_co_u32 v8, s0, s1, v10
	ds_read_b128 v[0:3], v96 offset:3200
	ds_read_b128 v[4:7], v12 offset:22400
	v_add_co_ci_u32_e64 v9, s0, s4, v11, s0
	v_add_nc_u32_e32 v25, 0x1800, v96
	global_load_dwordx4 v[8:11], v[8:9], off
	s_waitcnt lgkmcnt(0)
	v_add_f64 v[21:22], v[0:1], -v[4:5]
	v_add_f64 v[23:24], v[2:3], v[6:7]
	v_add_f64 v[2:3], v[2:3], -v[6:7]
	v_add_f64 v[0:1], v[0:1], v[4:5]
	v_mul_f64 v[6:7], v[21:22], 0.5
	v_mul_f64 v[21:22], v[23:24], 0.5
	;; [unrolled: 1-line block ×3, first 2 shown]
	s_waitcnt vmcnt(2)
	v_mul_f64 v[4:5], v[6:7], v[15:16]
	v_fma_f64 v[23:24], v[21:22], v[15:16], v[2:3]
	v_fma_f64 v[2:3], v[21:22], v[15:16], -v[2:3]
	v_fma_f64 v[15:16], v[0:1], 0.5, v[4:5]
	v_fma_f64 v[0:1], v[0:1], 0.5, -v[4:5]
	v_fma_f64 v[4:5], -v[13:14], v[6:7], v[23:24]
	v_fma_f64 v[2:3], -v[13:14], v[6:7], v[2:3]
	v_fma_f64 v[6:7], v[21:22], v[13:14], v[15:16]
	v_fma_f64 v[0:1], -v[21:22], v[13:14], v[0:1]
	v_lshlrev_b64 v[13:14], 4, v[86:87]
	v_add_nc_u32_e32 v15, 0x800, v96
	v_add_nc_u32_e32 v86, 0x258, v82
	ds_write2_b64 v15, v[6:7], v[4:5] offset0:144 offset1:145
	ds_write_b128 v12, v[0:3] offset:22400
	v_add_co_u32 v13, s0, s1, v13
	ds_read_b128 v[0:3], v96 offset:4800
	ds_read_b128 v[4:7], v12 offset:20800
	v_add_co_ci_u32_e64 v14, s0, s4, v14, s0
	global_load_dwordx4 v[13:16], v[13:14], off
	s_waitcnt lgkmcnt(0)
	v_add_f64 v[21:22], v[0:1], -v[4:5]
	v_add_f64 v[23:24], v[2:3], v[6:7]
	v_add_f64 v[2:3], v[2:3], -v[6:7]
	v_add_f64 v[0:1], v[0:1], v[4:5]
	v_mul_f64 v[6:7], v[21:22], 0.5
	v_mul_f64 v[21:22], v[23:24], 0.5
	;; [unrolled: 1-line block ×3, first 2 shown]
	s_waitcnt vmcnt(2)
	v_mul_f64 v[4:5], v[6:7], v[19:20]
	v_fma_f64 v[23:24], v[21:22], v[19:20], v[2:3]
	v_fma_f64 v[2:3], v[21:22], v[19:20], -v[2:3]
	v_fma_f64 v[19:20], v[0:1], 0.5, v[4:5]
	v_fma_f64 v[0:1], v[0:1], 0.5, -v[4:5]
	v_fma_f64 v[4:5], -v[17:18], v[6:7], v[23:24]
	v_fma_f64 v[2:3], -v[17:18], v[6:7], v[2:3]
	v_fma_f64 v[6:7], v[21:22], v[17:18], v[19:20]
	v_fma_f64 v[0:1], -v[21:22], v[17:18], v[0:1]
	v_lshlrev_b64 v[17:18], 4, v[86:87]
	v_add_nc_u32_e32 v19, 0x1000, v96
	v_add_nc_u32_e32 v86, 0x2bc, v82
	ds_write2_b64 v19, v[6:7], v[4:5] offset0:88 offset1:89
	ds_write_b128 v12, v[0:3] offset:20800
	v_add_co_u32 v17, s0, s1, v17
	ds_read_b128 v[0:3], v96 offset:6400
	ds_read_b128 v[4:7], v12 offset:19200
	v_add_co_ci_u32_e64 v18, s0, s4, v18, s0
	global_load_dwordx4 v[17:20], v[17:18], off
	s_waitcnt lgkmcnt(0)
	v_add_f64 v[21:22], v[0:1], -v[4:5]
	v_add_f64 v[23:24], v[2:3], v[6:7]
	v_add_f64 v[2:3], v[2:3], -v[6:7]
	v_add_f64 v[0:1], v[0:1], v[4:5]
	v_mul_f64 v[6:7], v[21:22], 0.5
	v_mul_f64 v[21:22], v[23:24], 0.5
	;; [unrolled: 1-line block ×3, first 2 shown]
	s_waitcnt vmcnt(2)
	v_mul_f64 v[4:5], v[6:7], v[10:11]
	v_fma_f64 v[23:24], v[21:22], v[10:11], v[2:3]
	v_fma_f64 v[2:3], v[21:22], v[10:11], -v[2:3]
	v_fma_f64 v[10:11], v[0:1], 0.5, v[4:5]
	v_fma_f64 v[0:1], v[0:1], 0.5, -v[4:5]
	v_fma_f64 v[4:5], -v[8:9], v[6:7], v[23:24]
	v_fma_f64 v[2:3], -v[8:9], v[6:7], v[2:3]
	v_fma_f64 v[6:7], v[21:22], v[8:9], v[10:11]
	v_fma_f64 v[0:1], -v[21:22], v[8:9], v[0:1]
	v_lshlrev_b64 v[8:9], 4, v[86:87]
	ds_write2_b64 v25, v[6:7], v[4:5] offset0:32 offset1:33
	ds_write_b128 v12, v[0:3] offset:19200
	v_add_co_u32 v8, s0, s1, v8
	ds_read_b128 v[0:3], v96 offset:8000
	ds_read_b128 v[4:7], v12 offset:17600
	v_add_co_ci_u32_e64 v9, s0, s4, v9, s0
	global_load_dwordx4 v[8:11], v[8:9], off
	s_waitcnt lgkmcnt(0)
	v_add_f64 v[21:22], v[0:1], -v[4:5]
	v_add_f64 v[23:24], v[2:3], v[6:7]
	v_add_f64 v[2:3], v[2:3], -v[6:7]
	v_add_f64 v[0:1], v[0:1], v[4:5]
	v_mul_f64 v[6:7], v[21:22], 0.5
	v_mul_f64 v[21:22], v[23:24], 0.5
	;; [unrolled: 1-line block ×3, first 2 shown]
	s_waitcnt vmcnt(2)
	v_mul_f64 v[4:5], v[6:7], v[15:16]
	v_fma_f64 v[23:24], v[21:22], v[15:16], v[2:3]
	v_fma_f64 v[2:3], v[21:22], v[15:16], -v[2:3]
	v_fma_f64 v[15:16], v[0:1], 0.5, v[4:5]
	v_fma_f64 v[0:1], v[0:1], 0.5, -v[4:5]
	v_fma_f64 v[4:5], -v[13:14], v[6:7], v[23:24]
	v_fma_f64 v[2:3], -v[13:14], v[6:7], v[2:3]
	v_fma_f64 v[6:7], v[21:22], v[13:14], v[15:16]
	v_fma_f64 v[0:1], -v[21:22], v[13:14], v[0:1]
	ds_write2_b64 v25, v[6:7], v[4:5] offset0:232 offset1:233
	ds_write_b128 v12, v[0:3] offset:17600
	ds_read_b128 v[0:3], v96 offset:9600
	ds_read_b128 v[4:7], v12 offset:16000
	s_waitcnt lgkmcnt(0)
	v_add_f64 v[13:14], v[0:1], -v[4:5]
	v_add_f64 v[15:16], v[2:3], v[6:7]
	v_add_f64 v[2:3], v[2:3], -v[6:7]
	v_add_f64 v[0:1], v[0:1], v[4:5]
	v_mul_f64 v[6:7], v[13:14], 0.5
	v_mul_f64 v[13:14], v[15:16], 0.5
	;; [unrolled: 1-line block ×3, first 2 shown]
	s_waitcnt vmcnt(1)
	v_mul_f64 v[4:5], v[6:7], v[19:20]
	v_fma_f64 v[15:16], v[13:14], v[19:20], v[2:3]
	v_fma_f64 v[2:3], v[13:14], v[19:20], -v[2:3]
	v_fma_f64 v[19:20], v[0:1], 0.5, v[4:5]
	v_fma_f64 v[0:1], v[0:1], 0.5, -v[4:5]
	v_fma_f64 v[4:5], -v[17:18], v[6:7], v[15:16]
	v_fma_f64 v[2:3], -v[17:18], v[6:7], v[2:3]
	v_fma_f64 v[6:7], v[13:14], v[17:18], v[19:20]
	v_fma_f64 v[0:1], -v[13:14], v[17:18], v[0:1]
	v_add_nc_u32_e32 v13, 0x2000, v96
	ds_write2_b64 v13, v[6:7], v[4:5] offset0:176 offset1:177
	ds_write_b128 v12, v[0:3] offset:16000
	ds_read_b128 v[0:3], v96 offset:11200
	ds_read_b128 v[4:7], v12 offset:14400
	s_waitcnt lgkmcnt(0)
	v_add_f64 v[13:14], v[0:1], -v[4:5]
	v_add_f64 v[15:16], v[2:3], v[6:7]
	v_add_f64 v[2:3], v[2:3], -v[6:7]
	v_add_f64 v[0:1], v[0:1], v[4:5]
	v_mul_f64 v[6:7], v[13:14], 0.5
	v_mul_f64 v[13:14], v[15:16], 0.5
	;; [unrolled: 1-line block ×3, first 2 shown]
	s_waitcnt vmcnt(0)
	v_mul_f64 v[4:5], v[6:7], v[10:11]
	v_fma_f64 v[15:16], v[13:14], v[10:11], v[2:3]
	v_fma_f64 v[2:3], v[13:14], v[10:11], -v[2:3]
	v_fma_f64 v[10:11], v[0:1], 0.5, v[4:5]
	v_fma_f64 v[0:1], v[0:1], 0.5, -v[4:5]
	v_fma_f64 v[4:5], -v[8:9], v[6:7], v[15:16]
	v_fma_f64 v[2:3], -v[8:9], v[6:7], v[2:3]
	v_fma_f64 v[6:7], v[13:14], v[8:9], v[10:11]
	v_fma_f64 v[0:1], -v[13:14], v[8:9], v[0:1]
	v_add_nc_u32_e32 v8, 0x2800, v96
	ds_write2_b64 v8, v[6:7], v[4:5] offset0:120 offset1:121
	ds_write_b128 v12, v[0:3] offset:14400
	s_waitcnt lgkmcnt(0)
	s_barrier
	buffer_gl0_inv
	s_and_saveexec_b32 s0, vcc_lo
	s_cbranch_execz .LBB0_26
; %bb.24:
	v_mul_lo_u32 v0, s3, v84
	v_mul_lo_u32 v3, s2, v85
	v_mad_u64_u32 v[1:2], null, s2, v84, 0
	v_mov_b32_e32 v83, v87
	v_lshlrev_b64 v[11:12], 4, v[80:81]
	v_add_nc_u32_e32 v86, 0x64, v82
	v_lshlrev_b64 v[13:14], 4, v[82:83]
	v_add3_u32 v2, v2, v3, v0
	v_lshl_add_u32 v0, v82, 4, v95
	v_lshlrev_b64 v[19:20], 4, v[86:87]
	ds_read_b128 v[3:6], v0
	ds_read_b128 v[7:10], v0 offset:1600
	v_lshlrev_b64 v[1:2], 4, v[1:2]
	v_add_nc_u32_e32 v86, 0xc8, v82
	v_add_co_u32 v1, vcc_lo, s10, v1
	v_add_co_ci_u32_e32 v2, vcc_lo, s11, v2, vcc_lo
	v_lshlrev_b64 v[21:22], 4, v[86:87]
	v_add_co_u32 v1, vcc_lo, v1, v11
	v_add_co_ci_u32_e32 v2, vcc_lo, v2, v12, vcc_lo
	v_add_nc_u32_e32 v86, 0x12c, v82
	v_add_co_u32 v23, vcc_lo, v1, v13
	v_add_co_ci_u32_e32 v24, vcc_lo, v2, v14, vcc_lo
	ds_read_b128 v[11:14], v0 offset:3200
	ds_read_b128 v[15:18], v0 offset:4800
	v_add_co_u32 v19, vcc_lo, v1, v19
	v_lshlrev_b64 v[25:26], 4, v[86:87]
	v_add_nc_u32_e32 v86, 0x190, v82
	v_add_co_ci_u32_e32 v20, vcc_lo, v2, v20, vcc_lo
	v_add_co_u32 v21, vcc_lo, v1, v21
	v_add_co_ci_u32_e32 v22, vcc_lo, v2, v22, vcc_lo
	v_add_co_u32 v25, vcc_lo, v1, v25
	v_lshlrev_b64 v[27:28], 4, v[86:87]
	v_add_nc_u32_e32 v86, 0x1f4, v82
	v_add_co_ci_u32_e32 v26, vcc_lo, v2, v26, vcc_lo
	s_waitcnt lgkmcnt(3)
	global_store_dwordx4 v[23:24], v[3:6], off
	s_waitcnt lgkmcnt(2)
	global_store_dwordx4 v[19:20], v[7:10], off
	;; [unrolled: 2-line block ×4, first 2 shown]
	v_lshlrev_b64 v[19:20], 4, v[86:87]
	v_add_nc_u32_e32 v86, 0x258, v82
	ds_read_b128 v[3:6], v0 offset:6400
	ds_read_b128 v[7:10], v0 offset:8000
	;; [unrolled: 1-line block ×4, first 2 shown]
	v_add_co_u32 v21, vcc_lo, v1, v27
	v_lshlrev_b64 v[23:24], 4, v[86:87]
	v_add_nc_u32_e32 v86, 0x2bc, v82
	v_add_co_ci_u32_e32 v22, vcc_lo, v2, v28, vcc_lo
	v_add_co_u32 v19, vcc_lo, v1, v19
	v_lshlrev_b64 v[25:26], 4, v[86:87]
	v_add_co_ci_u32_e32 v20, vcc_lo, v2, v20, vcc_lo
	v_add_co_u32 v23, vcc_lo, v1, v23
	v_add_co_ci_u32_e32 v24, vcc_lo, v2, v24, vcc_lo
	v_add_nc_u32_e32 v86, 0x320, v82
	v_add_co_u32 v25, vcc_lo, v1, v25
	v_add_co_ci_u32_e32 v26, vcc_lo, v2, v26, vcc_lo
	v_lshlrev_b64 v[27:28], 4, v[86:87]
	v_add_nc_u32_e32 v86, 0x384, v82
	s_waitcnt lgkmcnt(3)
	global_store_dwordx4 v[21:22], v[3:6], off
	s_waitcnt lgkmcnt(2)
	global_store_dwordx4 v[19:20], v[7:10], off
	;; [unrolled: 2-line block ×4, first 2 shown]
	ds_read_b128 v[3:6], v0 offset:12800
	ds_read_b128 v[7:10], v0 offset:14400
	;; [unrolled: 1-line block ×4, first 2 shown]
	v_lshlrev_b64 v[19:20], 4, v[86:87]
	v_add_nc_u32_e32 v86, 0x3e8, v82
	v_add_co_u32 v21, vcc_lo, v1, v27
	v_add_co_ci_u32_e32 v22, vcc_lo, v2, v28, vcc_lo
	v_lshlrev_b64 v[23:24], 4, v[86:87]
	v_add_nc_u32_e32 v86, 0x44c, v82
	v_add_co_u32 v19, vcc_lo, v1, v19
	v_add_co_ci_u32_e32 v20, vcc_lo, v2, v20, vcc_lo
	v_lshlrev_b64 v[25:26], 4, v[86:87]
	v_add_nc_u32_e32 v86, 0x4b0, v82
	v_add_co_u32 v23, vcc_lo, v1, v23
	s_waitcnt lgkmcnt(3)
	global_store_dwordx4 v[21:22], v[3:6], off
	v_add_co_ci_u32_e32 v24, vcc_lo, v2, v24, vcc_lo
	v_lshlrev_b64 v[3:4], 4, v[86:87]
	v_add_nc_u32_e32 v86, 0x514, v82
	v_add_co_u32 v25, vcc_lo, v1, v25
	v_add_co_ci_u32_e32 v26, vcc_lo, v2, v26, vcc_lo
	v_lshlrev_b64 v[21:22], 4, v[86:87]
	v_add_nc_u32_e32 v86, 0x578, v82
	s_waitcnt lgkmcnt(2)
	global_store_dwordx4 v[19:20], v[7:10], off
	s_waitcnt lgkmcnt(1)
	global_store_dwordx4 v[23:24], v[11:14], off
	;; [unrolled: 2-line block ×3, first 2 shown]
	v_add_co_u32 v19, vcc_lo, v1, v3
	v_add_co_ci_u32_e32 v20, vcc_lo, v2, v4, vcc_lo
	ds_read_b128 v[3:6], v0 offset:19200
	ds_read_b128 v[7:10], v0 offset:20800
	;; [unrolled: 1-line block ×4, first 2 shown]
	v_lshlrev_b64 v[23:24], 4, v[86:87]
	v_add_nc_u32_e32 v86, 0x5dc, v82
	v_add_co_u32 v21, vcc_lo, v1, v21
	v_add_co_ci_u32_e32 v22, vcc_lo, v2, v22, vcc_lo
	v_lshlrev_b64 v[25:26], 4, v[86:87]
	v_add_co_u32 v23, vcc_lo, v1, v23
	v_add_co_ci_u32_e32 v24, vcc_lo, v2, v24, vcc_lo
	v_add_co_u32 v25, vcc_lo, v1, v25
	v_add_co_ci_u32_e32 v26, vcc_lo, v2, v26, vcc_lo
	v_cmp_eq_u32_e32 vcc_lo, 0x63, v82
	s_waitcnt lgkmcnt(3)
	global_store_dwordx4 v[19:20], v[3:6], off
	s_waitcnt lgkmcnt(2)
	global_store_dwordx4 v[21:22], v[7:10], off
	;; [unrolled: 2-line block ×4, first 2 shown]
	s_and_b32 exec_lo, exec_lo, vcc_lo
	s_cbranch_execz .LBB0_26
; %bb.25:
	ds_read_b128 v[3:6], v0 offset:24016
	v_add_co_u32 v0, vcc_lo, 0x6000, v1
	v_add_co_ci_u32_e32 v1, vcc_lo, 0, v2, vcc_lo
	s_waitcnt lgkmcnt(0)
	global_store_dwordx4 v[0:1], v[3:6], off offset:1024
.LBB0_26:
	s_endpgm
	.section	.rodata,"a",@progbits
	.p2align	6, 0x0
	.amdhsa_kernel fft_rtc_back_len1600_factors_10_16_10_wgs_200_tpt_100_halfLds_dp_op_CI_CI_unitstride_sbrr_R2C_dirReg
		.amdhsa_group_segment_fixed_size 0
		.amdhsa_private_segment_fixed_size 0
		.amdhsa_kernarg_size 104
		.amdhsa_user_sgpr_count 6
		.amdhsa_user_sgpr_private_segment_buffer 1
		.amdhsa_user_sgpr_dispatch_ptr 0
		.amdhsa_user_sgpr_queue_ptr 0
		.amdhsa_user_sgpr_kernarg_segment_ptr 1
		.amdhsa_user_sgpr_dispatch_id 0
		.amdhsa_user_sgpr_flat_scratch_init 0
		.amdhsa_user_sgpr_private_segment_size 0
		.amdhsa_wavefront_size32 1
		.amdhsa_uses_dynamic_stack 0
		.amdhsa_system_sgpr_private_segment_wavefront_offset 0
		.amdhsa_system_sgpr_workgroup_id_x 1
		.amdhsa_system_sgpr_workgroup_id_y 0
		.amdhsa_system_sgpr_workgroup_id_z 0
		.amdhsa_system_sgpr_workgroup_info 0
		.amdhsa_system_vgpr_workitem_id 0
		.amdhsa_next_free_vgpr 185
		.amdhsa_next_free_sgpr 27
		.amdhsa_reserve_vcc 1
		.amdhsa_reserve_flat_scratch 0
		.amdhsa_float_round_mode_32 0
		.amdhsa_float_round_mode_16_64 0
		.amdhsa_float_denorm_mode_32 3
		.amdhsa_float_denorm_mode_16_64 3
		.amdhsa_dx10_clamp 1
		.amdhsa_ieee_mode 1
		.amdhsa_fp16_overflow 0
		.amdhsa_workgroup_processor_mode 1
		.amdhsa_memory_ordered 1
		.amdhsa_forward_progress 0
		.amdhsa_shared_vgpr_count 0
		.amdhsa_exception_fp_ieee_invalid_op 0
		.amdhsa_exception_fp_denorm_src 0
		.amdhsa_exception_fp_ieee_div_zero 0
		.amdhsa_exception_fp_ieee_overflow 0
		.amdhsa_exception_fp_ieee_underflow 0
		.amdhsa_exception_fp_ieee_inexact 0
		.amdhsa_exception_int_div_zero 0
	.end_amdhsa_kernel
	.text
.Lfunc_end0:
	.size	fft_rtc_back_len1600_factors_10_16_10_wgs_200_tpt_100_halfLds_dp_op_CI_CI_unitstride_sbrr_R2C_dirReg, .Lfunc_end0-fft_rtc_back_len1600_factors_10_16_10_wgs_200_tpt_100_halfLds_dp_op_CI_CI_unitstride_sbrr_R2C_dirReg
                                        ; -- End function
	.section	.AMDGPU.csdata,"",@progbits
; Kernel info:
; codeLenInByte = 13676
; NumSgprs: 29
; NumVgprs: 185
; ScratchSize: 0
; MemoryBound: 0
; FloatMode: 240
; IeeeMode: 1
; LDSByteSize: 0 bytes/workgroup (compile time only)
; SGPRBlocks: 3
; VGPRBlocks: 23
; NumSGPRsForWavesPerEU: 29
; NumVGPRsForWavesPerEU: 185
; Occupancy: 5
; WaveLimiterHint : 1
; COMPUTE_PGM_RSRC2:SCRATCH_EN: 0
; COMPUTE_PGM_RSRC2:USER_SGPR: 6
; COMPUTE_PGM_RSRC2:TRAP_HANDLER: 0
; COMPUTE_PGM_RSRC2:TGID_X_EN: 1
; COMPUTE_PGM_RSRC2:TGID_Y_EN: 0
; COMPUTE_PGM_RSRC2:TGID_Z_EN: 0
; COMPUTE_PGM_RSRC2:TIDIG_COMP_CNT: 0
	.text
	.p2alignl 6, 3214868480
	.fill 48, 4, 3214868480
	.type	__hip_cuid_4c8c1493565c37b5,@object ; @__hip_cuid_4c8c1493565c37b5
	.section	.bss,"aw",@nobits
	.globl	__hip_cuid_4c8c1493565c37b5
__hip_cuid_4c8c1493565c37b5:
	.byte	0                               ; 0x0
	.size	__hip_cuid_4c8c1493565c37b5, 1

	.ident	"AMD clang version 19.0.0git (https://github.com/RadeonOpenCompute/llvm-project roc-6.4.0 25133 c7fe45cf4b819c5991fe208aaa96edf142730f1d)"
	.section	".note.GNU-stack","",@progbits
	.addrsig
	.addrsig_sym __hip_cuid_4c8c1493565c37b5
	.amdgpu_metadata
---
amdhsa.kernels:
  - .args:
      - .actual_access:  read_only
        .address_space:  global
        .offset:         0
        .size:           8
        .value_kind:     global_buffer
      - .offset:         8
        .size:           8
        .value_kind:     by_value
      - .actual_access:  read_only
        .address_space:  global
        .offset:         16
        .size:           8
        .value_kind:     global_buffer
      - .actual_access:  read_only
        .address_space:  global
        .offset:         24
        .size:           8
        .value_kind:     global_buffer
      - .actual_access:  read_only
        .address_space:  global
        .offset:         32
        .size:           8
        .value_kind:     global_buffer
      - .offset:         40
        .size:           8
        .value_kind:     by_value
      - .actual_access:  read_only
        .address_space:  global
        .offset:         48
        .size:           8
        .value_kind:     global_buffer
      - .actual_access:  read_only
        .address_space:  global
        .offset:         56
        .size:           8
        .value_kind:     global_buffer
      - .offset:         64
        .size:           4
        .value_kind:     by_value
      - .actual_access:  read_only
        .address_space:  global
        .offset:         72
        .size:           8
        .value_kind:     global_buffer
      - .actual_access:  read_only
        .address_space:  global
        .offset:         80
        .size:           8
        .value_kind:     global_buffer
      - .actual_access:  read_only
        .address_space:  global
        .offset:         88
        .size:           8
        .value_kind:     global_buffer
      - .actual_access:  write_only
        .address_space:  global
        .offset:         96
        .size:           8
        .value_kind:     global_buffer
    .group_segment_fixed_size: 0
    .kernarg_segment_align: 8
    .kernarg_segment_size: 104
    .language:       OpenCL C
    .language_version:
      - 2
      - 0
    .max_flat_workgroup_size: 200
    .name:           fft_rtc_back_len1600_factors_10_16_10_wgs_200_tpt_100_halfLds_dp_op_CI_CI_unitstride_sbrr_R2C_dirReg
    .private_segment_fixed_size: 0
    .sgpr_count:     29
    .sgpr_spill_count: 0
    .symbol:         fft_rtc_back_len1600_factors_10_16_10_wgs_200_tpt_100_halfLds_dp_op_CI_CI_unitstride_sbrr_R2C_dirReg.kd
    .uniform_work_group_size: 1
    .uses_dynamic_stack: false
    .vgpr_count:     185
    .vgpr_spill_count: 0
    .wavefront_size: 32
    .workgroup_processor_mode: 1
amdhsa.target:   amdgcn-amd-amdhsa--gfx1030
amdhsa.version:
  - 1
  - 2
...

	.end_amdgpu_metadata
